;; amdgpu-corpus repo=ROCm/rocFFT kind=compiled arch=gfx906 opt=O3
	.text
	.amdgcn_target "amdgcn-amd-amdhsa--gfx906"
	.amdhsa_code_object_version 6
	.protected	bluestein_single_back_len1375_dim1_sp_op_CI_CI ; -- Begin function bluestein_single_back_len1375_dim1_sp_op_CI_CI
	.globl	bluestein_single_back_len1375_dim1_sp_op_CI_CI
	.p2align	8
	.type	bluestein_single_back_len1375_dim1_sp_op_CI_CI,@function
bluestein_single_back_len1375_dim1_sp_op_CI_CI: ; @bluestein_single_back_len1375_dim1_sp_op_CI_CI
; %bb.0:
	s_load_dwordx4 s[8:11], s[4:5], 0x28
	s_mov_b64 s[22:23], s[2:3]
	v_mul_u32_u24_e32 v1, 0x4a8, v0
	s_mov_b64 s[20:21], s[0:1]
	v_add_u32_sdwa v4, s6, v1 dst_sel:DWORD dst_unused:UNUSED_PAD src0_sel:DWORD src1_sel:WORD_1
	v_mov_b32_e32 v5, 0
	s_add_u32 s20, s20, s7
	s_waitcnt lgkmcnt(0)
	v_cmp_gt_u64_e32 vcc, s[8:9], v[4:5]
	s_addc_u32 s21, s21, 0
	s_and_saveexec_b64 s[0:1], vcc
	s_cbranch_execz .LBB0_15
; %bb.1:
	s_load_dwordx4 s[0:3], s[4:5], 0x18
	s_load_dwordx2 s[6:7], s[4:5], 0x0
	v_mov_b32_e32 v2, 55
	v_mul_lo_u16_sdwa v1, v1, v2 dst_sel:DWORD dst_unused:UNUSED_PAD src0_sel:WORD_1 src1_sel:DWORD
	v_sub_u16_e32 v227, v0, v1
	s_waitcnt lgkmcnt(0)
	s_load_dwordx4 s[12:15], s[0:1], 0x0
	v_mov_b32_e32 v5, v4
	buffer_store_dword v5, off, s[20:23], 0 ; 4-byte Folded Spill
	s_nop 0
	buffer_store_dword v6, off, s[20:23], 0 offset:4 ; 4-byte Folded Spill
	v_mov_b32_e32 v7, s11
	v_lshlrev_b32_e32 v228, 3, v227
	s_waitcnt lgkmcnt(0)
	v_mad_u64_u32 v[0:1], s[0:1], s14, v4, 0
	v_mad_u64_u32 v[2:3], s[0:1], s12, v227, 0
	global_load_dwordx2 v[212:213], v228, s[6:7]
	global_load_dwordx2 v[210:211], v228, s[6:7] offset:1000
	global_load_dwordx2 v[208:209], v228, s[6:7] offset:2000
	v_mad_u64_u32 v[4:5], s[0:1], s15, v4, v[1:2]
	v_mad_u64_u32 v[5:6], s[0:1], s13, v227, v[3:4]
	v_mov_b32_e32 v1, v4
	v_lshlrev_b64 v[0:1], 3, v[0:1]
	v_mov_b32_e32 v3, v5
	v_add_co_u32_e32 v6, vcc, s10, v0
	v_addc_co_u32_e32 v7, vcc, v7, v1, vcc
	v_lshlrev_b64 v[0:1], 3, v[2:3]
	s_mul_i32 s0, s13, 0x7d
	v_add_co_u32_e32 v0, vcc, v6, v0
	v_addc_co_u32_e32 v1, vcc, v7, v1, vcc
	s_mul_hi_u32 s1, s12, 0x7d
	v_mov_b32_e32 v4, s7
	v_add_co_u32_e32 v178, vcc, s6, v228
	s_add_i32 s1, s1, s0
	s_mul_i32 s0, s12, 0x7d
	v_addc_co_u32_e32 v179, vcc, 0, v4, vcc
	s_lshl_b64 s[16:17], s[0:1], 3
	global_load_dwordx2 v[2:3], v[0:1], off
	v_mov_b32_e32 v44, s17
	v_add_co_u32_e32 v0, vcc, s16, v0
	v_addc_co_u32_e32 v1, vcc, v1, v44, vcc
	v_add_co_u32_e32 v4, vcc, s16, v0
	v_addc_co_u32_e32 v5, vcc, v1, v44, vcc
	;; [unrolled: 2-line block ×3, first 2 shown]
	global_load_dwordx2 v[10:11], v[0:1], off
	global_load_dwordx2 v[12:13], v[4:5], off
	;; [unrolled: 1-line block ×3, first 2 shown]
	global_load_dwordx2 v[206:207], v228, s[6:7] offset:3000
	v_add_co_u32_e32 v0, vcc, s16, v8
	v_addc_co_u32_e32 v1, vcc, v9, v44, vcc
	global_load_dwordx2 v[4:5], v[0:1], off
	global_load_dwordx2 v[204:205], v228, s[6:7] offset:4000
	v_add_co_u32_e32 v8, vcc, s16, v0
	v_addc_co_u32_e32 v9, vcc, v1, v44, vcc
	s_movk_i32 s0, 0x1000
	v_add_co_u32_e32 v0, vcc, s0, v178
	v_addc_co_u32_e32 v1, vcc, 0, v179, vcc
	global_load_dwordx2 v[202:203], v[0:1], off offset:904
	global_load_dwordx2 v[16:17], v[8:9], off
	s_load_dwordx2 s[14:15], s[4:5], 0x38
	s_load_dwordx4 s[8:11], s[2:3], 0x0
	global_load_dwordx2 v[186:187], v228, s[6:7] offset:1440
	global_load_dwordx2 v[198:199], v228, s[6:7] offset:440
	;; [unrolled: 1-line block ×4, first 2 shown]
	global_load_dwordx2 v[218:219], v[0:1], off offset:1904
	global_load_dwordx2 v[180:181], v[0:1], off offset:1344
	;; [unrolled: 1-line block ×3, first 2 shown]
	s_movk_i32 s0, 0x2000
	s_mul_hi_u32 s1, s12, 0xfffffb55
	s_sub_i32 s1, s1, s12
	s_waitcnt vmcnt(15)
	v_mul_f32_e32 v18, v3, v213
	v_mul_f32_e32 v19, v2, v213
	v_fmac_f32_e32 v18, v2, v212
	v_fma_f32 v19, v3, v212, -v19
	s_waitcnt vmcnt(14)
	v_mul_f32_e32 v2, v11, v211
	v_mul_f32_e32 v3, v10, v211
	v_fmac_f32_e32 v2, v10, v210
	v_fma_f32 v3, v11, v210, -v3
	ds_write_b64 v228, v[2:3] offset:1000
	s_waitcnt vmcnt(11)
	v_mul_f32_e32 v2, v15, v207
	v_mul_f32_e32 v3, v14, v207
	;; [unrolled: 1-line block ×4, first 2 shown]
	v_fmac_f32_e32 v2, v14, v206
	v_fma_f32 v3, v15, v206, -v3
	v_fmac_f32_e32 v10, v12, v208
	v_fma_f32 v11, v13, v208, -v11
	ds_write_b64 v228, v[2:3] offset:3000
	v_add_co_u32_e32 v2, vcc, s16, v8
	ds_write_b64 v228, v[10:11] offset:2000
	s_waitcnt vmcnt(9)
	v_mul_f32_e32 v10, v5, v205
	v_mul_f32_e32 v11, v4, v205
	v_addc_co_u32_e32 v3, vcc, v9, v44, vcc
	v_fmac_f32_e32 v10, v4, v204
	v_fma_f32 v11, v5, v204, -v11
	global_load_dwordx2 v[8:9], v[2:3], off
	v_add_co_u32_e32 v2, vcc, s16, v2
	ds_write_b64 v228, v[10:11] offset:4000
	v_addc_co_u32_e32 v3, vcc, v3, v44, vcc
	global_load_dwordx2 v[12:13], v[2:3], off
	global_load_dwordx2 v[222:223], v[0:1], off offset:2904
	v_add_co_u32_e32 v2, vcc, s16, v2
	v_addc_co_u32_e32 v3, vcc, v3, v44, vcc
	v_add_co_u32_e32 v4, vcc, s16, v2
	v_addc_co_u32_e32 v5, vcc, v3, v44, vcc
	global_load_dwordx2 v[14:15], v[2:3], off
	global_load_dwordx2 v[220:221], v[0:1], off offset:3904
	v_add_co_u32_e32 v2, vcc, s0, v178
	v_addc_co_u32_e32 v3, vcc, 0, v179, vcc
	s_mul_i32 s0, s13, 0xfffffb55
	global_load_dwordx2 v[20:21], v[4:5], off
	global_load_dwordx2 v[216:217], v[2:3], off offset:808
	v_add_co_u32_e32 v4, vcc, s16, v4
	s_add_i32 s1, s1, s0
	s_mul_i32 s0, s12, 0xfffffb55
	v_addc_co_u32_e32 v5, vcc, v5, v44, vcc
	s_lshl_b64 s[0:1], s[0:1], 3
	global_load_dwordx2 v[22:23], v[4:5], off
	global_load_dwordx2 v[214:215], v[2:3], off offset:1808
	v_mov_b32_e32 v11, s1
	v_add_co_u32_e32 v4, vcc, s0, v4
	v_addc_co_u32_e32 v5, vcc, v5, v11, vcc
	global_load_dwordx2 v[24:25], v[4:5], off
	v_add_co_u32_e32 v4, vcc, s16, v4
	v_addc_co_u32_e32 v5, vcc, v5, v44, vcc
	global_load_dwordx2 v[26:27], v[4:5], off
	;; [unrolled: 3-line block ×7, first 2 shown]
	global_load_dwordx2 v[194:195], v[0:1], off offset:3344
	global_load_dwordx2 v[200:201], v[0:1], off offset:2344
	v_add_co_u32_e32 v4, vcc, s16, v4
	v_addc_co_u32_e32 v5, vcc, v5, v44, vcc
	global_load_dwordx2 v[38:39], v[4:5], off
	v_add_co_u32_e32 v4, vcc, s16, v4
	v_addc_co_u32_e32 v5, vcc, v5, v44, vcc
	global_load_dwordx2 v[40:41], v[4:5], off
	global_load_dwordx2 v[190:191], v[2:3], off offset:1248
	global_load_dwordx2 v[196:197], v[2:3], off offset:248
	v_add_co_u32_e32 v4, vcc, s16, v4
	v_addc_co_u32_e32 v5, vcc, v5, v44, vcc
	global_load_dwordx2 v[42:43], v[4:5], off
	v_add_co_u32_e32 v4, vcc, s16, v4
	v_addc_co_u32_e32 v5, vcc, v5, v44, vcc
	global_load_dwordx2 v[44:45], v[4:5], off
	global_load_dwordx2 v[188:189], v[2:3], off offset:2248
	s_waitcnt vmcnt(32)
	v_mul_f32_e32 v10, v17, v203
	v_mul_f32_e32 v11, v16, v203
	v_fmac_f32_e32 v10, v16, v202
	v_fma_f32 v11, v17, v202, -v11
	ds_write_b64 v228, v[10:11] offset:5000
	s_waitcnt vmcnt(24)
	v_mul_f32_e32 v10, v9, v219
	v_fmac_f32_e32 v10, v8, v218
	v_mul_f32_e32 v8, v8, v219
	v_fma_f32 v11, v9, v218, -v8
	s_waitcnt vmcnt(22)
	v_mul_f32_e32 v8, v13, v223
	v_mul_f32_e32 v9, v12, v223
	v_fmac_f32_e32 v8, v12, v222
	v_fma_f32 v9, v13, v222, -v9
	ds_write_b64 v228, v[8:9] offset:7000
	s_waitcnt vmcnt(20)
	v_mul_f32_e32 v8, v15, v221
	v_mul_f32_e32 v9, v14, v221
	v_fmac_f32_e32 v8, v14, v220
	v_fma_f32 v9, v15, v220, -v9
	ds_write_b64 v228, v[8:9] offset:8000
	;; [unrolled: 6-line block ×5, first 2 shown]
	ds_write2_b64 v228, v[18:19], v[8:9] offset1:55
	s_waitcnt vmcnt(14)
	v_mul_f32_e32 v8, v27, v187
	v_mul_f32_e32 v9, v26, v187
	v_fmac_f32_e32 v8, v26, v186
	v_fma_f32 v9, v27, v186, -v9
	ds_write_b64 v228, v[8:9] offset:1440
	s_waitcnt vmcnt(13)
	v_mul_f32_e32 v8, v29, v193
	v_mul_f32_e32 v9, v28, v193
	v_fmac_f32_e32 v8, v28, v192
	v_fma_f32 v9, v29, v192, -v9
	ds_write_b64 v228, v[8:9] offset:2440
	;; [unrolled: 6-line block ×9, first 2 shown]
	s_waitcnt vmcnt(0)
	v_mul_f32_e32 v8, v45, v189
	v_mul_f32_e32 v9, v44, v189
	v_fmac_f32_e32 v8, v44, v188
	v_fma_f32 v9, v45, v188, -v9
	v_cmp_gt_u16_e32 vcc, 15, v227
	ds_write_b64 v228, v[8:9] offset:10440
	s_and_saveexec_b64 s[2:3], vcc
	s_cbranch_execz .LBB0_3
; %bb.2:
	v_mov_b32_e32 v8, s1
	v_add_co_u32_e64 v4, s[0:1], s0, v4
	v_addc_co_u32_e64 v5, s[0:1], v5, v8, s[0:1]
	global_load_dwordx2 v[8:9], v[4:5], off
	v_mov_b32_e32 v42, s17
	v_add_co_u32_e64 v4, s[0:1], s16, v4
	v_addc_co_u32_e64 v5, s[0:1], v5, v42, s[0:1]
	global_load_dwordx2 v[10:11], v[4:5], off
	v_add_co_u32_e64 v4, s[0:1], s16, v4
	v_addc_co_u32_e64 v5, s[0:1], v5, v42, s[0:1]
	global_load_dwordx2 v[12:13], v[4:5], off
	;; [unrolled: 3-line block ×3, first 2 shown]
	global_load_dwordx2 v[16:17], v[178:179], off offset:880
	global_load_dwordx2 v[18:19], v[178:179], off offset:1880
	;; [unrolled: 1-line block ×4, first 2 shown]
	v_add_co_u32_e64 v4, s[0:1], s16, v4
	v_addc_co_u32_e64 v5, s[0:1], v5, v42, s[0:1]
	global_load_dwordx2 v[24:25], v[4:5], off
	v_add_co_u32_e64 v4, s[0:1], s16, v4
	v_addc_co_u32_e64 v5, s[0:1], v5, v42, s[0:1]
	global_load_dwordx2 v[26:27], v[4:5], off
	;; [unrolled: 3-line block ×4, first 2 shown]
	global_load_dwordx2 v[32:33], v[0:1], off offset:784
	global_load_dwordx2 v[34:35], v[0:1], off offset:1784
	;; [unrolled: 1-line block ×4, first 2 shown]
	v_add_co_u32_e64 v0, s[0:1], s16, v4
	v_or_b32_e32 v48, 0x550, v227
	v_addc_co_u32_e64 v1, s[0:1], v5, v42, s[0:1]
	v_mad_u64_u32 v[40:41], s[0:1], s12, v48, 0
	global_load_dwordx2 v[4:5], v[0:1], off
	v_add_co_u32_e64 v0, s[0:1], s16, v0
	v_addc_co_u32_e64 v1, s[0:1], v1, v42, s[0:1]
	v_mad_u64_u32 v[41:42], s[0:1], s13, v48, v[41:42]
	global_load_dwordx2 v[42:43], v[0:1], off
	global_load_dwordx2 v[44:45], v[2:3], off offset:688
	global_load_dwordx2 v[46:47], v[2:3], off offset:1688
	v_lshlrev_b64 v[0:1], 3, v[40:41]
	v_lshlrev_b32_e32 v40, 3, v48
	v_add_co_u32_e64 v0, s[0:1], v6, v0
	v_addc_co_u32_e64 v1, s[0:1], v7, v1, s[0:1]
	global_load_dwordx2 v[2:3], v40, s[6:7]
	global_load_dwordx2 v[6:7], v[0:1], off
	s_waitcnt vmcnt(17)
	v_mul_f32_e32 v0, v9, v17
	v_mul_f32_e32 v1, v8, v17
	v_fmac_f32_e32 v0, v8, v16
	v_fma_f32 v1, v9, v16, -v1
	s_waitcnt vmcnt(16)
	v_mul_f32_e32 v8, v11, v19
	v_mul_f32_e32 v9, v10, v19
	v_fmac_f32_e32 v8, v10, v18
	v_fma_f32 v9, v11, v18, -v9
	ds_write2_b64 v228, v[0:1], v[8:9] offset0:110 offset1:235
	s_waitcnt vmcnt(15)
	v_mul_f32_e32 v0, v13, v21
	v_mul_f32_e32 v1, v12, v21
	s_waitcnt vmcnt(14)
	v_mul_f32_e32 v8, v15, v23
	v_mul_f32_e32 v9, v14, v23
	v_fmac_f32_e32 v0, v12, v20
	v_fma_f32 v1, v13, v20, -v1
	v_fmac_f32_e32 v8, v14, v22
	v_fma_f32 v9, v15, v22, -v9
	v_add_u32_e32 v10, 0x800, v228
	ds_write2_b64 v10, v[0:1], v[8:9] offset0:104 offset1:229
	v_add_u32_e32 v10, 0x1000, v228
	s_waitcnt vmcnt(9)
	v_mul_f32_e32 v0, v25, v33
	v_mul_f32_e32 v1, v24, v33
	s_waitcnt vmcnt(8)
	v_mul_f32_e32 v8, v27, v35
	v_mul_f32_e32 v9, v26, v35
	v_fmac_f32_e32 v0, v24, v32
	v_fma_f32 v1, v25, v32, -v1
	v_fmac_f32_e32 v8, v26, v34
	v_fma_f32 v9, v27, v34, -v9
	ds_write2_b64 v10, v[0:1], v[8:9] offset0:98 offset1:223
	s_waitcnt vmcnt(7)
	v_mul_f32_e32 v0, v29, v37
	v_mul_f32_e32 v1, v28, v37
	s_waitcnt vmcnt(6)
	v_mul_f32_e32 v8, v31, v39
	v_mul_f32_e32 v9, v30, v39
	v_fmac_f32_e32 v0, v28, v36
	v_fma_f32 v1, v29, v36, -v1
	v_fmac_f32_e32 v8, v30, v38
	v_fma_f32 v9, v31, v38, -v9
	v_add_u32_e32 v10, 0x1800, v228
	ds_write2_b64 v10, v[0:1], v[8:9] offset0:92 offset1:217
	s_waitcnt vmcnt(3)
	v_mul_f32_e32 v0, v5, v45
	v_mul_f32_e32 v1, v4, v45
	v_fmac_f32_e32 v0, v4, v44
	v_fma_f32 v1, v5, v44, -v1
	s_waitcnt vmcnt(2)
	v_mul_f32_e32 v4, v43, v47
	v_mul_f32_e32 v5, v42, v47
	v_fmac_f32_e32 v4, v42, v46
	v_fma_f32 v5, v43, v46, -v5
	v_add_u32_e32 v8, 0x2000, v228
	ds_write2_b64 v8, v[0:1], v[4:5] offset0:86 offset1:211
	s_waitcnt vmcnt(0)
	v_mul_f32_e32 v0, v7, v3
	v_mul_f32_e32 v1, v6, v3
	v_fmac_f32_e32 v0, v6, v2
	v_fma_f32 v1, v7, v2, -v1
	ds_write_b64 v228, v[0:1] offset:10880
.LBB0_3:
	s_or_b64 exec, exec, s[2:3]
	v_add_u32_e32 v0, 0x400, v228
	v_add_u32_e32 v16, 0x1c00, v228
	s_waitcnt lgkmcnt(0)
	; wave barrier
	s_waitcnt lgkmcnt(0)
	ds_read2_b64 v[44:47], v228 offset1:55
	ds_read2_b64 v[56:59], v228 offset0:125 offset1:180
	ds_read2_b64 v[48:51], v0 offset0:122 offset1:177
	v_add_u32_e32 v0, 0xc00, v228
	ds_read2_b64 v[40:43], v16 offset0:104 offset1:159
	v_add_u32_e32 v16, 0x2000, v228
	v_add_u32_e32 v21, 0x800, v228
	ds_read2_b64 v[8:11], v0 offset0:116 offset1:171
	v_add_u32_e32 v0, 0x1000, v228
	v_add_u32_e32 v4, 0x1400, v228
	;; [unrolled: 1-line block ×3, first 2 shown]
	ds_read2_b64 v[52:55], v16 offset0:101 offset1:156
	v_add_u32_e32 v16, 0x2400, v228
	s_load_dwordx2 s[4:5], s[4:5], 0x8
	ds_read2_b64 v[36:39], v21 offset0:119 offset1:174
	ds_read2_b64 v[0:3], v0 offset0:113 offset1:168
	;; [unrolled: 1-line block ×5, first 2 shown]
	v_mov_b32_e32 v16, 0
	v_mov_b32_e32 v17, 0
                                        ; implicit-def: $vgpr20
                                        ; implicit-def: $vgpr32
                                        ; implicit-def: $vgpr64
                                        ; implicit-def: $vgpr30
                                        ; implicit-def: $vgpr26
	s_and_saveexec_b64 s[0:1], vcc
	s_cbranch_execz .LBB0_5
; %bb.4:
	v_add_u32_e32 v20, 0x1000, v228
	v_add_u32_e32 v32, 0x2000, v228
	ds_read2_b64 v[16:19], v228 offset0:110 offset1:235
	ds_read2_b64 v[24:27], v21 offset0:104 offset1:229
	;; [unrolled: 1-line block ×5, first 2 shown]
	ds_read_b64 v[64:65], v228 offset:10880
.LBB0_5:
	s_or_b64 exec, exec, s[0:1]
	s_waitcnt lgkmcnt(0)
	v_add_f32_e32 v66, v44, v56
	v_add_f32_e32 v67, v45, v57
	v_add_f32_e32 v66, v66, v48
	v_add_f32_e32 v67, v67, v49
	v_add_f32_e32 v66, v66, v36
	v_add_f32_e32 v67, v67, v37
	v_add_f32_e32 v66, v66, v8
	v_add_f32_e32 v67, v67, v9
	v_add_f32_e32 v66, v66, v0
	v_add_f32_e32 v67, v67, v1
	v_add_f32_e32 v66, v66, v4
	v_add_f32_e32 v67, v67, v5
	v_add_f32_e32 v66, v66, v12
	v_add_f32_e32 v67, v67, v13
	v_add_f32_e32 v66, v66, v40
	v_add_f32_e32 v67, v67, v41
	v_add_f32_e32 v66, v66, v52
	v_add_f32_e32 v68, v60, v56
	v_add_f32_e32 v69, v61, v57
	v_sub_f32_e32 v56, v56, v60
	v_sub_f32_e32 v57, v57, v61
	v_add_f32_e32 v67, v67, v53
	v_add_f32_e32 v66, v66, v60
	v_mul_f32_e32 v60, 0xbf0a6770, v57
	s_mov_b32 s0, 0x3f575c64
	v_mul_f32_e32 v70, 0xbf0a6770, v56
	v_mul_f32_e32 v72, 0xbf68dda4, v57
	s_mov_b32 s2, 0x3ed4b147
	v_mul_f32_e32 v74, 0xbf68dda4, v56
	;; [unrolled: 3-line block ×5, first 2 shown]
	v_add_f32_e32 v67, v67, v61
	v_fma_f32 v61, v68, s0, -v60
	v_mov_b32_e32 v71, v70
	v_fmac_f32_e32 v60, 0x3f575c64, v68
	v_fma_f32 v73, v68, s2, -v72
	v_mov_b32_e32 v75, v74
	v_fmac_f32_e32 v72, 0x3ed4b147, v68
	;; [unrolled: 3-line block ×5, first 2 shown]
	v_add_f32_e32 v61, v44, v61
	v_fmac_f32_e32 v71, 0x3f575c64, v69
	v_add_f32_e32 v60, v44, v60
	v_fma_f32 v70, v69, s0, -v70
	v_add_f32_e32 v73, v44, v73
	v_fmac_f32_e32 v75, 0x3ed4b147, v69
	v_add_f32_e32 v72, v44, v72
	v_fma_f32 v74, v69, s2, -v74
	;; [unrolled: 4-line block ×5, first 2 shown]
	v_add_f32_e32 v57, v53, v49
	v_sub_f32_e32 v49, v49, v53
	v_add_f32_e32 v71, v45, v71
	v_add_f32_e32 v70, v45, v70
	;; [unrolled: 1-line block ×11, first 2 shown]
	v_sub_f32_e32 v48, v48, v52
	v_mul_f32_e32 v52, 0xbf68dda4, v49
	v_fma_f32 v53, v56, s2, -v52
	v_add_f32_e32 v53, v53, v61
	v_mul_f32_e32 v61, 0xbf68dda4, v48
	v_fmac_f32_e32 v52, 0x3ed4b147, v56
	v_mov_b32_e32 v68, v61
	v_add_f32_e32 v52, v52, v60
	v_fma_f32 v60, v57, s2, -v61
	v_mul_f32_e32 v61, 0xbf4178ce, v49
	v_fma_f32 v69, v56, s1, -v61
	v_fmac_f32_e32 v61, 0xbf27a4f4, v56
	v_fmac_f32_e32 v68, 0x3ed4b147, v57
	v_add_f32_e32 v60, v60, v70
	v_mul_f32_e32 v70, 0xbf4178ce, v48
	v_add_f32_e32 v61, v61, v72
	v_mul_f32_e32 v72, 0x3e903f40, v49
	v_add_f32_e32 v68, v68, v71
	v_add_f32_e32 v69, v69, v73
	v_mov_b32_e32 v71, v70
	v_fma_f32 v70, v57, s1, -v70
	v_fma_f32 v73, v56, s12, -v72
	v_fmac_f32_e32 v72, 0xbf75a155, v56
	v_fmac_f32_e32 v71, 0xbf27a4f4, v57
	v_add_f32_e32 v70, v70, v74
	v_mul_f32_e32 v74, 0x3e903f40, v48
	v_add_f32_e32 v72, v72, v76
	v_mul_f32_e32 v76, 0x3f7d64f0, v49
	v_add_f32_e32 v71, v71, v75
	v_add_f32_e32 v73, v73, v77
	v_mov_b32_e32 v75, v74
	v_fma_f32 v74, v57, s12, -v74
	v_fma_f32 v77, v56, s3, -v76
	v_fmac_f32_e32 v76, 0xbe11bafb, v56
	v_mul_f32_e32 v49, 0x3f0a6770, v49
	v_add_f32_e32 v74, v74, v78
	v_mul_f32_e32 v78, 0x3f7d64f0, v48
	v_add_f32_e32 v76, v76, v80
	v_fma_f32 v80, v56, s0, -v49
	v_mul_f32_e32 v48, 0x3f0a6770, v48
	v_fmac_f32_e32 v49, 0x3f575c64, v56
	v_add_f32_e32 v77, v77, v81
	v_mov_b32_e32 v81, v48
	v_add_f32_e32 v44, v49, v44
	v_fma_f32 v48, v57, s0, -v48
	v_add_f32_e32 v49, v41, v37
	v_sub_f32_e32 v37, v37, v41
	v_add_f32_e32 v45, v48, v45
	v_add_f32_e32 v48, v40, v36
	v_sub_f32_e32 v36, v36, v40
	v_mul_f32_e32 v40, 0xbf7d64f0, v37
	v_fma_f32 v41, v48, s3, -v40
	v_fmac_f32_e32 v75, 0xbf75a155, v57
	v_add_f32_e32 v41, v41, v53
	v_mul_f32_e32 v53, 0xbf7d64f0, v36
	v_fmac_f32_e32 v40, 0xbe11bafb, v48
	v_add_f32_e32 v75, v75, v79
	v_mov_b32_e32 v79, v78
	v_mov_b32_e32 v56, v53
	v_add_f32_e32 v40, v40, v52
	v_fma_f32 v52, v49, s3, -v53
	v_mul_f32_e32 v53, 0x3e903f40, v37
	v_fmac_f32_e32 v79, 0xbe11bafb, v57
	v_fma_f32 v78, v57, s3, -v78
	v_fmac_f32_e32 v81, 0x3f575c64, v57
	v_fmac_f32_e32 v56, 0xbe11bafb, v49
	v_add_f32_e32 v52, v52, v60
	v_fma_f32 v57, v48, s12, -v53
	v_mul_f32_e32 v60, 0x3e903f40, v36
	v_fmac_f32_e32 v53, 0xbf75a155, v48
	v_add_f32_e32 v56, v56, v68
	v_mov_b32_e32 v68, v60
	v_add_f32_e32 v53, v53, v61
	v_fma_f32 v60, v49, s12, -v60
	v_mul_f32_e32 v61, 0x3f68dda4, v37
	v_add_f32_e32 v57, v57, v69
	v_fmac_f32_e32 v68, 0xbf75a155, v49
	v_add_f32_e32 v60, v60, v70
	v_fma_f32 v69, v48, s2, -v61
	v_mul_f32_e32 v70, 0x3f68dda4, v36
	v_fmac_f32_e32 v61, 0x3ed4b147, v48
	v_add_f32_e32 v68, v68, v71
	v_mov_b32_e32 v71, v70
	v_add_f32_e32 v61, v61, v72
	v_fma_f32 v70, v49, s2, -v70
	v_mul_f32_e32 v72, 0xbf0a6770, v37
	v_add_f32_e32 v69, v69, v73
	v_add_f32_e32 v70, v70, v74
	v_fma_f32 v73, v48, s0, -v72
	v_mul_f32_e32 v74, 0xbf0a6770, v36
	v_mul_f32_e32 v36, 0xbf4178ce, v36
	v_add_f32_e32 v73, v73, v77
	v_fmac_f32_e32 v72, 0x3f575c64, v48
	v_mul_f32_e32 v37, 0xbf4178ce, v37
	v_mov_b32_e32 v77, v36
	v_fma_f32 v36, v49, s1, -v36
	v_add_f32_e32 v72, v72, v76
	v_fma_f32 v76, v48, s1, -v37
	v_fmac_f32_e32 v37, 0xbf27a4f4, v48
	v_add_f32_e32 v36, v36, v45
	v_add_f32_e32 v45, v13, v9
	v_sub_f32_e32 v9, v9, v13
	v_add_f32_e32 v37, v37, v44
	v_add_f32_e32 v44, v12, v8
	v_sub_f32_e32 v8, v8, v12
	v_mul_f32_e32 v12, 0xbf4178ce, v9
	v_fma_f32 v13, v44, s1, -v12
	v_fmac_f32_e32 v71, 0x3ed4b147, v49
	v_add_f32_e32 v13, v13, v41
	v_mul_f32_e32 v41, 0xbf4178ce, v8
	v_fmac_f32_e32 v12, 0xbf27a4f4, v44
	v_add_f32_e32 v71, v71, v75
	v_mov_b32_e32 v75, v74
	v_mov_b32_e32 v48, v41
	v_add_f32_e32 v12, v12, v40
	v_fma_f32 v40, v45, s1, -v41
	v_mul_f32_e32 v41, 0x3f7d64f0, v9
	v_fmac_f32_e32 v75, 0x3f575c64, v49
	v_fma_f32 v74, v49, s0, -v74
	v_fmac_f32_e32 v77, 0xbf27a4f4, v49
	v_add_f32_e32 v40, v40, v52
	v_fma_f32 v49, v44, s3, -v41
	v_mul_f32_e32 v52, 0x3f7d64f0, v8
	v_fmac_f32_e32 v41, 0xbe11bafb, v44
	v_fmac_f32_e32 v48, 0xbf27a4f4, v45
	v_add_f32_e32 v53, v41, v53
	v_fma_f32 v41, v45, s3, -v52
	v_add_f32_e32 v48, v48, v56
	v_mov_b32_e32 v56, v52
	v_add_f32_e32 v52, v41, v60
	v_mul_f32_e32 v41, 0xbf0a6770, v9
	v_add_f32_e32 v49, v49, v57
	v_fma_f32 v57, v44, s0, -v41
	v_mul_f32_e32 v60, 0xbf0a6770, v8
	v_fmac_f32_e32 v41, 0x3f575c64, v44
	v_fmac_f32_e32 v56, 0xbe11bafb, v45
	v_add_f32_e32 v61, v41, v61
	v_fma_f32 v41, v45, s0, -v60
	v_add_f32_e32 v56, v56, v68
	v_mov_b32_e32 v68, v60
	v_add_f32_e32 v60, v41, v70
	v_mul_f32_e32 v41, 0xbe903f40, v9
	v_add_f32_e32 v78, v78, v82
	v_add_f32_e32 v57, v57, v69
	v_fma_f32 v69, v44, s12, -v41
	v_mul_f32_e32 v70, 0xbe903f40, v8
	v_fmac_f32_e32 v41, 0xbf75a155, v44
	v_add_f32_e32 v80, v80, v84
	v_add_f32_e32 v74, v74, v78
	v_fmac_f32_e32 v68, 0x3f575c64, v45
	v_add_f32_e32 v72, v41, v72
	v_fma_f32 v41, v45, s12, -v70
	v_mul_f32_e32 v9, 0x3f68dda4, v9
	v_add_f32_e32 v76, v76, v80
	v_add_f32_e32 v68, v68, v71
	v_mov_b32_e32 v71, v70
	v_add_f32_e32 v70, v41, v74
	v_fma_f32 v41, v44, s2, -v9
	v_mul_f32_e32 v8, 0x3f68dda4, v8
	v_add_f32_e32 v79, v79, v83
	v_add_f32_e32 v81, v81, v85
	;; [unrolled: 1-line block ×4, first 2 shown]
	v_mov_b32_e32 v41, v8
	v_add_f32_e32 v75, v75, v79
	v_add_f32_e32 v77, v77, v81
	v_fmac_f32_e32 v71, 0xbf75a155, v45
	v_fmac_f32_e32 v41, 0x3ed4b147, v45
	v_sub_f32_e32 v78, v1, v5
	v_add_f32_e32 v71, v71, v75
	v_add_f32_e32 v74, v41, v77
	;; [unrolled: 1-line block ×3, first 2 shown]
	v_sub_f32_e32 v77, v0, v4
	v_mul_f32_e32 v4, 0xbe903f40, v78
	v_fma_f32 v0, v75, s12, -v4
	v_fmac_f32_e32 v4, 0xbf75a155, v75
	v_add_f32_e32 v76, v5, v1
	v_mul_f32_e32 v5, 0xbe903f40, v77
	v_add_f32_e32 v4, v4, v12
	v_mul_f32_e32 v12, 0x3f0a6770, v78
	v_add_f32_e32 v0, v0, v13
	v_mov_b32_e32 v1, v5
	v_fma_f32 v5, v76, s12, -v5
	v_fma_f32 v13, v75, s0, -v12
	v_fma_f32 v8, v45, s2, -v8
	v_add_f32_e32 v5, v5, v40
	v_add_f32_e32 v40, v13, v49
	v_mul_f32_e32 v13, 0x3f0a6770, v77
	v_add_f32_e32 v8, v8, v36
	v_mov_b32_e32 v36, v13
	v_fmac_f32_e32 v36, 0x3f575c64, v76
	v_fmac_f32_e32 v12, 0x3f575c64, v75
	;; [unrolled: 1-line block ×3, first 2 shown]
	v_add_f32_e32 v41, v36, v56
	v_add_f32_e32 v36, v12, v53
	v_fma_f32 v12, v76, s0, -v13
	v_add_f32_e32 v9, v9, v37
	v_add_f32_e32 v37, v12, v52
	v_mul_f32_e32 v12, 0xbf4178ce, v78
	v_fmac_f32_e32 v1, 0xbf75a155, v76
	v_fma_f32 v13, v75, s1, -v12
	v_add_f32_e32 v1, v1, v48
	v_add_f32_e32 v48, v13, v57
	v_mul_f32_e32 v13, 0xbf4178ce, v77
	v_mov_b32_e32 v44, v13
	v_fmac_f32_e32 v44, 0xbf27a4f4, v76
	v_fmac_f32_e32 v12, 0xbf27a4f4, v75
	v_add_f32_e32 v49, v44, v68
	v_add_f32_e32 v44, v12, v61
	v_fma_f32 v12, v76, s1, -v13
	v_add_f32_e32 v45, v12, v60
	v_mul_f32_e32 v12, 0x3f68dda4, v78
	v_fma_f32 v13, v75, s2, -v12
	v_add_f32_e32 v52, v13, v69
	v_mul_f32_e32 v13, 0x3f68dda4, v77
	v_fmac_f32_e32 v12, 0x3ed4b147, v75
	v_add_f32_e32 v56, v12, v72
	v_fma_f32 v12, v76, s2, -v13
	v_add_f32_e32 v57, v12, v70
	v_mul_f32_e32 v12, 0xbf7d64f0, v78
	v_mov_b32_e32 v53, v13
	v_fma_f32 v13, v75, s3, -v12
	v_add_f32_e32 v60, v13, v73
	v_mul_f32_e32 v13, 0xbf7d64f0, v77
	v_fmac_f32_e32 v12, 0xbe11bafb, v75
	v_add_f32_e32 v68, v12, v9
	v_fma_f32 v9, v76, s3, -v13
	v_add_f32_e32 v69, v9, v8
	v_add_f32_e32 v8, v46, v58
	;; [unrolled: 1-line block ×14, first 2 shown]
	v_mov_b32_e32 v61, v13
	v_add_f32_e32 v9, v9, v15
	v_add_f32_e32 v8, v8, v42
	v_fmac_f32_e32 v61, 0xbe11bafb, v76
	v_add_f32_e32 v9, v9, v43
	v_add_f32_e32 v8, v8, v54
	v_sub_f32_e32 v12, v58, v62
	v_fmac_f32_e32 v53, 0x3ed4b147, v76
	v_add_f32_e32 v61, v61, v74
	v_add_f32_e32 v9, v9, v55
	;; [unrolled: 1-line block ×4, first 2 shown]
	v_mul_f32_e32 v62, 0xbf0a6770, v12
	v_mul_f32_e32 v74, 0xbf68dda4, v12
	;; [unrolled: 1-line block ×5, first 2 shown]
	v_add_f32_e32 v53, v53, v71
	v_add_f32_e32 v71, v9, v63
	;; [unrolled: 1-line block ×3, first 2 shown]
	v_sub_f32_e32 v13, v59, v63
	v_mov_b32_e32 v63, v62
	v_mov_b32_e32 v75, v74
	;; [unrolled: 1-line block ×5, first 2 shown]
	v_mul_f32_e32 v58, 0xbf0a6770, v13
	v_fmac_f32_e32 v63, 0x3f575c64, v9
	v_fma_f32 v62, v9, s0, -v62
	v_mul_f32_e32 v72, 0xbf68dda4, v13
	v_fmac_f32_e32 v75, 0x3ed4b147, v9
	v_fma_f32 v74, v9, s2, -v74
	;; [unrolled: 3-line block ×5, first 2 shown]
	v_fma_f32 v59, v8, s0, -v58
	v_add_f32_e32 v63, v47, v63
	v_fmac_f32_e32 v58, 0x3f575c64, v8
	v_add_f32_e32 v62, v47, v62
	v_fma_f32 v73, v8, s2, -v72
	v_add_f32_e32 v75, v47, v75
	v_fmac_f32_e32 v72, 0x3ed4b147, v8
	v_add_f32_e32 v74, v47, v74
	;; [unrolled: 4-line block ×5, first 2 shown]
	v_sub_f32_e32 v47, v51, v55
	v_add_f32_e32 v59, v46, v59
	v_add_f32_e32 v58, v46, v58
	;; [unrolled: 1-line block ×11, first 2 shown]
	v_sub_f32_e32 v46, v50, v54
	v_mul_f32_e32 v50, 0xbf68dda4, v47
	v_add_f32_e32 v13, v55, v51
	v_fma_f32 v51, v12, s2, -v50
	v_mul_f32_e32 v54, 0xbf68dda4, v46
	v_fmac_f32_e32 v50, 0x3ed4b147, v12
	v_mov_b32_e32 v55, v54
	v_add_f32_e32 v50, v50, v58
	v_fma_f32 v54, v13, s2, -v54
	v_mul_f32_e32 v58, 0xbf4178ce, v47
	v_add_f32_e32 v51, v51, v59
	v_fmac_f32_e32 v55, 0x3ed4b147, v13
	v_add_f32_e32 v54, v54, v62
	v_fma_f32 v59, v12, s1, -v58
	v_mul_f32_e32 v62, 0xbf4178ce, v46
	v_fmac_f32_e32 v58, 0xbf27a4f4, v12
	v_add_f32_e32 v55, v55, v63
	v_mov_b32_e32 v63, v62
	v_add_f32_e32 v58, v58, v72
	v_fma_f32 v62, v13, s1, -v62
	v_mul_f32_e32 v72, 0x3e903f40, v47
	v_add_f32_e32 v59, v59, v73
	v_fmac_f32_e32 v63, 0xbf27a4f4, v13
	v_add_f32_e32 v62, v62, v74
	v_fma_f32 v73, v12, s12, -v72
	v_mul_f32_e32 v74, 0x3e903f40, v46
	v_fmac_f32_e32 v72, 0xbf75a155, v12
	v_add_f32_e32 v63, v63, v75
	v_mov_b32_e32 v75, v74
	v_add_f32_e32 v72, v72, v76
	v_fma_f32 v74, v13, s12, -v74
	v_mul_f32_e32 v76, 0x3f7d64f0, v47
	v_add_f32_e32 v73, v73, v77
	v_fmac_f32_e32 v75, 0xbf75a155, v13
	v_add_f32_e32 v74, v74, v78
	v_fma_f32 v77, v12, s3, -v76
	v_mul_f32_e32 v78, 0x3f7d64f0, v46
	v_mul_f32_e32 v46, 0x3f0a6770, v46
	v_add_f32_e32 v75, v75, v79
	v_add_f32_e32 v77, v77, v81
	v_mov_b32_e32 v79, v78
	v_fmac_f32_e32 v76, 0xbe11bafb, v12
	v_mul_f32_e32 v47, 0x3f0a6770, v47
	v_mov_b32_e32 v81, v46
	v_fmac_f32_e32 v79, 0xbe11bafb, v13
	v_add_f32_e32 v76, v76, v80
	v_fma_f32 v78, v13, s3, -v78
	v_fma_f32 v80, v12, s0, -v47
	v_fmac_f32_e32 v81, 0x3f575c64, v13
	v_fmac_f32_e32 v47, 0x3f575c64, v12
	v_fma_f32 v12, v13, s0, -v46
	v_add_f32_e32 v13, v43, v39
	v_sub_f32_e32 v39, v39, v43
	v_add_f32_e32 v9, v12, v9
	v_add_f32_e32 v12, v42, v38
	v_sub_f32_e32 v38, v38, v42
	v_mul_f32_e32 v42, 0xbf7d64f0, v39
	v_fma_f32 v43, v12, s3, -v42
	v_mul_f32_e32 v46, 0xbf7d64f0, v38
	v_fmac_f32_e32 v42, 0xbe11bafb, v12
	v_add_f32_e32 v8, v47, v8
	v_mov_b32_e32 v47, v46
	v_add_f32_e32 v42, v42, v50
	v_fma_f32 v46, v13, s3, -v46
	v_mul_f32_e32 v50, 0x3e903f40, v39
	v_add_f32_e32 v43, v43, v51
	v_fmac_f32_e32 v47, 0xbe11bafb, v13
	v_add_f32_e32 v46, v46, v54
	v_fma_f32 v51, v12, s12, -v50
	v_mul_f32_e32 v54, 0x3e903f40, v38
	v_fmac_f32_e32 v50, 0xbf75a155, v12
	v_add_f32_e32 v47, v47, v55
	v_mov_b32_e32 v55, v54
	v_add_f32_e32 v50, v50, v58
	v_fma_f32 v54, v13, s12, -v54
	v_mul_f32_e32 v58, 0x3f68dda4, v39
	v_add_f32_e32 v51, v51, v59
	v_fmac_f32_e32 v55, 0xbf75a155, v13
	v_add_f32_e32 v54, v54, v62
	;; [unrolled: 11-line block ×3, first 2 shown]
	v_fma_f32 v73, v12, s0, -v72
	v_mul_f32_e32 v74, 0xbf0a6770, v38
	v_fmac_f32_e32 v72, 0x3f575c64, v12
	v_mul_f32_e32 v39, 0xbf4178ce, v39
	v_mul_f32_e32 v38, 0xbf4178ce, v38
	v_add_f32_e32 v63, v63, v75
	v_add_f32_e32 v73, v73, v77
	v_mov_b32_e32 v75, v74
	v_add_f32_e32 v72, v72, v76
	v_fma_f32 v76, v12, s1, -v39
	v_mov_b32_e32 v77, v38
	v_fmac_f32_e32 v39, 0xbf27a4f4, v12
	v_fma_f32 v12, v13, s1, -v38
	v_fmac_f32_e32 v75, 0x3f575c64, v13
	v_fma_f32 v74, v13, s0, -v74
	v_fmac_f32_e32 v77, 0xbf27a4f4, v13
	v_add_f32_e32 v9, v12, v9
	v_add_f32_e32 v12, v14, v10
	;; [unrolled: 1-line block ×3, first 2 shown]
	v_sub_f32_e32 v10, v10, v14
	v_sub_f32_e32 v11, v11, v15
	v_mul_f32_e32 v14, 0xbf4178ce, v11
	v_mul_f32_e32 v38, 0xbf4178ce, v10
	v_add_f32_e32 v8, v39, v8
	v_fma_f32 v15, v12, s1, -v14
	v_mov_b32_e32 v39, v38
	v_fmac_f32_e32 v14, 0xbf27a4f4, v12
	v_fma_f32 v38, v13, s1, -v38
	v_fmac_f32_e32 v39, 0xbf27a4f4, v13
	v_add_f32_e32 v14, v14, v42
	v_add_f32_e32 v42, v38, v46
	v_mul_f32_e32 v46, 0x3f7d64f0, v10
	v_add_f32_e32 v39, v39, v47
	v_mul_f32_e32 v38, 0x3f7d64f0, v11
	v_mov_b32_e32 v47, v46
	v_add_f32_e32 v15, v15, v43
	v_fma_f32 v43, v12, s3, -v38
	v_fmac_f32_e32 v47, 0xbe11bafb, v13
	v_fmac_f32_e32 v38, 0xbe11bafb, v12
	v_add_f32_e32 v43, v43, v51
	v_add_f32_e32 v51, v47, v55
	;; [unrolled: 1-line block ×3, first 2 shown]
	v_fma_f32 v38, v13, s3, -v46
	v_add_f32_e32 v54, v38, v54
	v_mul_f32_e32 v38, 0xbf0a6770, v11
	v_fma_f32 v46, v12, s0, -v38
	v_add_f32_e32 v78, v78, v82
	v_add_f32_e32 v59, v46, v59
	v_mul_f32_e32 v46, 0xbf0a6770, v10
	v_fmac_f32_e32 v38, 0x3f575c64, v12
	v_add_f32_e32 v74, v74, v78
	v_add_f32_e32 v78, v38, v58
	v_fma_f32 v38, v13, s0, -v46
	v_add_f32_e32 v62, v38, v62
	v_mul_f32_e32 v38, 0xbe903f40, v11
	v_mov_b32_e32 v47, v46
	v_fma_f32 v46, v12, s12, -v38
	v_add_f32_e32 v73, v46, v73
	v_mul_f32_e32 v46, 0xbe903f40, v10
	v_fmac_f32_e32 v38, 0xbf75a155, v12
	v_add_f32_e32 v80, v80, v84
	v_add_f32_e32 v72, v38, v72
	v_fma_f32 v38, v13, s12, -v46
	v_mul_f32_e32 v11, 0x3f68dda4, v11
	v_add_f32_e32 v76, v76, v80
	v_add_f32_e32 v74, v38, v74
	v_fma_f32 v38, v12, s2, -v11
	v_mul_f32_e32 v10, 0x3f68dda4, v10
	v_fmac_f32_e32 v11, 0x3ed4b147, v12
	v_add_f32_e32 v76, v38, v76
	v_mov_b32_e32 v38, v10
	v_add_f32_e32 v8, v11, v8
	v_fma_f32 v10, v13, s2, -v10
	v_add_f32_e32 v11, v7, v3
	v_sub_f32_e32 v3, v3, v7
	v_add_f32_e32 v9, v10, v9
	v_add_f32_e32 v10, v6, v2
	v_sub_f32_e32 v2, v2, v6
	v_mul_f32_e32 v6, 0xbe903f40, v3
	v_fmac_f32_e32 v47, 0x3f575c64, v13
	v_fma_f32 v7, v10, s12, -v6
	v_add_f32_e32 v81, v81, v85
	v_add_f32_e32 v63, v47, v63
	v_mov_b32_e32 v47, v46
	v_add_f32_e32 v46, v7, v15
	v_mul_f32_e32 v7, 0xbe903f40, v2
	v_add_f32_e32 v79, v79, v83
	v_add_f32_e32 v77, v77, v81
	v_fmac_f32_e32 v38, 0x3ed4b147, v13
	v_mov_b32_e32 v12, v7
	v_fmac_f32_e32 v6, 0xbf75a155, v10
	v_add_f32_e32 v75, v75, v79
	v_fmac_f32_e32 v47, 0xbf75a155, v13
	v_add_f32_e32 v77, v38, v77
	;; [unrolled: 2-line block ×3, first 2 shown]
	v_fma_f32 v6, v11, s12, -v7
	v_add_f32_e32 v75, v47, v75
	v_add_f32_e32 v47, v12, v39
	v_add_f32_e32 v39, v6, v42
	v_mul_f32_e32 v6, 0x3f0a6770, v3
	v_fma_f32 v7, v10, s0, -v6
	v_add_f32_e32 v50, v7, v43
	v_mul_f32_e32 v7, 0x3f0a6770, v2
	v_fmac_f32_e32 v6, 0x3f575c64, v10
	v_add_f32_e32 v42, v6, v55
	v_fma_f32 v6, v11, s0, -v7
	v_add_f32_e32 v43, v6, v54
	v_mul_f32_e32 v6, 0xbf4178ce, v3
	v_mov_b32_e32 v12, v7
	v_fma_f32 v7, v10, s1, -v6
	v_add_f32_e32 v58, v7, v59
	v_mul_f32_e32 v7, 0xbf4178ce, v2
	v_fmac_f32_e32 v6, 0xbf27a4f4, v10
	v_add_f32_e32 v54, v6, v78
	v_fma_f32 v6, v11, s1, -v7
	v_fmac_f32_e32 v12, 0x3f575c64, v11
	v_add_f32_e32 v55, v6, v62
	v_mul_f32_e32 v6, 0x3f68dda4, v3
	v_add_f32_e32 v51, v12, v51
	v_mov_b32_e32 v12, v7
	v_fma_f32 v7, v10, s2, -v6
	v_add_f32_e32 v62, v7, v73
	v_mul_f32_e32 v7, 0x3f68dda4, v2
	v_fmac_f32_e32 v6, 0x3ed4b147, v10
	v_add_f32_e32 v72, v6, v72
	v_fma_f32 v6, v11, s2, -v7
	v_mul_f32_e32 v3, 0xbf7d64f0, v3
	v_fmac_f32_e32 v12, 0xbf27a4f4, v11
	v_add_f32_e32 v73, v6, v74
	v_fma_f32 v6, v10, s3, -v3
	v_mul_f32_e32 v2, 0xbf7d64f0, v2
	v_add_f32_e32 v59, v12, v63
	v_mov_b32_e32 v12, v7
	v_add_f32_e32 v74, v6, v76
	v_mov_b32_e32 v6, v2
	v_fmac_f32_e32 v3, 0xbe11bafb, v10
	v_sub_f32_e32 v10, v19, v65
	v_fmac_f32_e32 v12, 0x3ed4b147, v11
	v_fmac_f32_e32 v6, 0xbe11bafb, v11
	v_fma_f32 v2, v11, s3, -v2
	v_mul_f32_e32 v78, 0xbf0a6770, v10
	v_sub_f32_e32 v109, v25, v35
	v_add_f32_e32 v63, v12, v75
	v_add_f32_e32 v75, v6, v77
	;; [unrolled: 1-line block ×4, first 2 shown]
	v_sub_f32_e32 v11, v18, v64
	v_mov_b32_e32 v2, v78
	v_mul_f32_e32 v84, 0xbf68dda4, v109
	v_add_f32_e32 v83, v65, v19
	v_mul_f32_e32 v79, 0xbf0a6770, v11
	v_fmac_f32_e32 v2, 0x3f575c64, v82
	v_add_f32_e32 v88, v34, v24
	v_sub_f32_e32 v108, v24, v34
	v_mov_b32_e32 v14, v84
	v_add_f32_e32 v76, v3, v8
	v_add_f32_e32 v2, v2, v16
	v_fma_f32 v3, v83, s0, -v79
	v_mul_f32_e32 v80, 0xbf68dda4, v10
	v_add_f32_e32 v89, v35, v25
	v_mul_f32_e32 v85, 0xbf68dda4, v108
	v_fmac_f32_e32 v14, 0x3ed4b147, v88
	v_add_f32_e32 v3, v3, v17
	v_mov_b32_e32 v6, v80
	v_add_f32_e32 v2, v14, v2
	v_fma_f32 v14, v89, s2, -v85
	v_mul_f32_e32 v86, 0xbf4178ce, v109
	v_mul_f32_e32 v81, 0xbf68dda4, v11
	v_fmac_f32_e32 v6, 0x3ed4b147, v82
	v_add_f32_e32 v3, v14, v3
	v_mov_b32_e32 v14, v86
	v_add_f32_e32 v6, v6, v16
	v_fma_f32 v7, v83, s2, -v81
	v_mul_f32_e32 v87, 0xbf4178ce, v108
	v_fmac_f32_e32 v14, 0xbf27a4f4, v88
	v_add_f32_e32 v7, v7, v17
	v_mul_f32_e32 v8, 0xbf7d64f0, v10
	v_add_f32_e32 v6, v14, v6
	v_fma_f32 v14, v89, s1, -v87
	v_fma_f32 v9, v82, s3, -v8
	v_add_f32_e32 v7, v14, v7
	v_mul_f32_e32 v14, 0x3e903f40, v109
	v_sub_f32_e32 v111, v27, v33
	v_add_f32_e32 v9, v9, v16
	v_fma_f32 v15, v88, s12, -v14
	v_mul_f32_e32 v90, 0xbf7d64f0, v111
	v_add_f32_e32 v9, v15, v9
	v_add_f32_e32 v94, v32, v26
	v_sub_f32_e32 v110, v26, v32
	v_mov_b32_e32 v15, v90
	v_add_f32_e32 v95, v33, v27
	v_mul_f32_e32 v91, 0xbf7d64f0, v110
	v_fmac_f32_e32 v15, 0xbe11bafb, v94
	v_add_f32_e32 v2, v15, v2
	v_fma_f32 v15, v95, s3, -v91
	v_mul_f32_e32 v92, 0x3e903f40, v111
	v_add_f32_e32 v3, v15, v3
	v_mov_b32_e32 v15, v92
	v_mul_f32_e32 v93, 0x3e903f40, v110
	v_fmac_f32_e32 v15, 0xbf75a155, v94
	v_sub_f32_e32 v113, v29, v23
	v_add_f32_e32 v6, v15, v6
	v_fma_f32 v15, v95, s12, -v93
	v_mul_f32_e32 v96, 0xbf4178ce, v113
	v_add_f32_e32 v7, v15, v7
	v_add_f32_e32 v100, v22, v28
	v_sub_f32_e32 v112, v28, v22
	v_mov_b32_e32 v15, v96
	v_add_f32_e32 v101, v23, v29
	v_mul_f32_e32 v97, 0xbf4178ce, v112
	v_fmac_f32_e32 v15, 0xbf27a4f4, v100
	v_add_f32_e32 v2, v15, v2
	v_fma_f32 v15, v101, s1, -v97
	v_mul_f32_e32 v98, 0x3f7d64f0, v113
	v_add_f32_e32 v3, v15, v3
	v_mov_b32_e32 v15, v98
	v_mul_f32_e32 v99, 0x3f7d64f0, v112
	v_fmac_f32_e32 v15, 0xbe11bafb, v100
	v_sub_f32_e32 v115, v31, v21
	v_add_f32_e32 v6, v15, v6
	v_fma_f32 v15, v101, s3, -v99
	v_mul_f32_e32 v102, 0xbe903f40, v115
	v_add_f32_e32 v7, v15, v7
	v_add_f32_e32 v105, v20, v30
	v_sub_f32_e32 v114, v30, v20
	v_mov_b32_e32 v15, v102
	v_add_f32_e32 v106, v21, v31
	v_mul_f32_e32 v103, 0xbe903f40, v114
	v_fmac_f32_e32 v15, 0xbf75a155, v105
	v_add_f32_e32 v225, v15, v2
	v_fma_f32 v2, v106, s12, -v103
	v_add_f32_e32 v226, v2, v3
	v_mul_lo_u16_e32 v2, 11, v227
	v_mul_f32_e32 v104, 0x3f0a6770, v115
	v_lshlrev_b32_e32 v230, 3, v2
	s_waitcnt lgkmcnt(0)
	; wave barrier
	ds_write2_b64 v230, v[66:67], v[0:1] offset1:1
	v_mov_b32_e32 v0, v104
	v_mul_f32_e32 v12, 0xbf7d64f0, v11
	v_mul_f32_e32 v107, 0x3f0a6770, v114
	v_fmac_f32_e32 v0, 0x3f575c64, v105
	v_mov_b32_e32 v13, v12
	v_add_f32_e32 v2, v0, v6
	v_fma_f32 v0, v106, s0, -v107
	v_mul_f32_e32 v1, 0x3e903f40, v108
	v_fmac_f32_e32 v13, 0xbe11bafb, v83
	v_add_f32_e32 v3, v0, v7
	v_mov_b32_e32 v0, v1
	v_add_f32_e32 v13, v13, v17
	v_fmac_f32_e32 v0, 0xbf75a155, v89
	v_add_f32_e32 v0, v0, v13
	v_mul_f32_e32 v13, 0x3f68dda4, v111
	v_fma_f32 v6, v94, s2, -v13
	v_add_f32_e32 v6, v6, v9
	v_mul_f32_e32 v9, 0x3f68dda4, v110
	v_mov_b32_e32 v7, v9
	v_fmac_f32_e32 v7, 0x3ed4b147, v95
	v_mul_f32_e32 v15, 0xbf0a6770, v113
	v_add_f32_e32 v0, v7, v0
	v_fma_f32 v7, v100, s0, -v15
	v_mul_f32_e32 v66, 0xbf0a6770, v112
	v_add_f32_e32 v6, v7, v6
	v_mov_b32_e32 v7, v66
	v_fmac_f32_e32 v7, 0x3f575c64, v101
	v_mul_f32_e32 v67, 0xbf4178ce, v114
	v_add_f32_e32 v0, v7, v0
	v_mov_b32_e32 v7, v67
	v_fmac_f32_e32 v7, 0xbf27a4f4, v106
	v_fmac_f32_e32 v8, 0xbe11bafb, v82
	v_add_f32_e32 v7, v7, v0
	v_add_f32_e32 v0, v8, v16
	v_fma_f32 v8, v83, s3, -v12
	v_add_f32_e32 v8, v8, v17
	v_fma_f32 v1, v89, s12, -v1
	;; [unrolled: 2-line block ×3, first 2 shown]
	v_fmac_f32_e32 v14, 0xbf75a155, v88
	v_add_f32_e32 v1, v8, v1
	v_fma_f32 v8, v101, s0, -v66
	v_add_f32_e32 v0, v14, v0
	v_fmac_f32_e32 v13, 0x3ed4b147, v94
	v_add_f32_e32 v1, v8, v1
	v_mul_f32_e32 v12, 0xbf4178ce, v10
	v_fma_f32 v8, v106, s1, -v67
	v_add_f32_e32 v0, v13, v0
	v_add_f32_e32 v1, v8, v1
	v_fma_f32 v8, v82, s1, -v12
	v_mul_f32_e32 v13, 0x3f7d64f0, v109
	v_fmac_f32_e32 v15, 0x3f575c64, v100
	v_add_f32_e32 v8, v8, v16
	v_fma_f32 v9, v88, s3, -v13
	v_mul_f32_e32 v14, 0xbf4178ce, v11
	v_add_f32_e32 v0, v15, v0
	v_add_f32_e32 v8, v9, v8
	v_mov_b32_e32 v9, v14
	v_mul_f32_e32 v15, 0x3f7d64f0, v108
	v_fmac_f32_e32 v9, 0xbf27a4f4, v83
	v_mov_b32_e32 v66, v15
	v_add_f32_e32 v9, v9, v17
	v_fmac_f32_e32 v66, 0xbe11bafb, v89
	v_add_f32_e32 v9, v66, v9
	v_mul_f32_e32 v66, 0xbf0a6770, v111
	v_mul_f32_e32 v116, 0xbf4178ce, v115
	v_fma_f32 v67, v94, s0, -v66
	v_fma_f32 v117, v105, s1, -v116
	v_fmac_f32_e32 v116, 0xbf27a4f4, v105
	v_add_f32_e32 v8, v67, v8
	v_mul_f32_e32 v67, 0xbf0a6770, v110
	v_add_f32_e32 v0, v116, v0
	v_mov_b32_e32 v116, v67
	v_fmac_f32_e32 v116, 0x3f575c64, v95
	v_add_f32_e32 v9, v116, v9
	v_mul_f32_e32 v116, 0xbe903f40, v113
	v_fmac_f32_e32 v12, 0xbf27a4f4, v82
	v_add_f32_e32 v6, v117, v6
	v_fma_f32 v117, v100, s12, -v116
	v_add_f32_e32 v12, v12, v16
	v_fmac_f32_e32 v13, 0xbe11bafb, v88
	v_add_f32_e32 v8, v117, v8
	v_mul_f32_e32 v117, 0xbe903f40, v112
	v_add_f32_e32 v12, v13, v12
	v_fma_f32 v13, v83, s1, -v14
	v_mov_b32_e32 v118, v117
	v_add_f32_e32 v13, v13, v17
	v_fma_f32 v14, v89, s3, -v15
	v_fmac_f32_e32 v66, 0x3f575c64, v94
	v_fmac_f32_e32 v118, 0xbf75a155, v101
	v_mul_f32_e32 v120, 0x3f68dda4, v115
	v_add_f32_e32 v13, v14, v13
	v_add_f32_e32 v12, v66, v12
	v_fma_f32 v14, v95, s0, -v67
	v_fmac_f32_e32 v116, 0xbf75a155, v100
	v_add_f32_e32 v9, v118, v9
	v_mul_f32_e32 v118, 0x3f68dda4, v114
	v_fma_f32 v121, v105, s2, -v120
	v_add_f32_e32 v13, v14, v13
	v_add_f32_e32 v12, v116, v12
	v_fma_f32 v14, v101, s12, -v117
	v_fmac_f32_e32 v120, 0x3ed4b147, v105
	v_add_f32_e32 v13, v14, v13
	v_fma_f32 v15, v106, s2, -v118
	v_add_f32_e32 v14, v120, v12
	v_mul_f32_e32 v12, 0xbe903f40, v10
	v_add_f32_e32 v15, v15, v13
	v_fma_f32 v10, v82, s12, -v12
	v_mul_f32_e32 v13, 0x3f0a6770, v109
	v_add_f32_e32 v10, v10, v16
	v_fma_f32 v66, v88, s0, -v13
	v_add_f32_e32 v10, v66, v10
	v_mul_f32_e32 v66, 0xbf4178ce, v111
	v_fma_f32 v67, v94, s1, -v66
	v_add_f32_e32 v10, v67, v10
	v_mul_f32_e32 v67, 0x3f68dda4, v113
	;; [unrolled: 3-line block ×4, first 2 shown]
	v_mov_b32_e32 v11, v111
	v_mul_f32_e32 v108, 0x3f0a6770, v108
	v_fmac_f32_e32 v11, 0xbf75a155, v83
	v_mov_b32_e32 v113, v108
	v_add_f32_e32 v11, v11, v17
	v_fmac_f32_e32 v113, 0x3f575c64, v89
	v_mul_f32_e32 v110, 0xbf4178ce, v110
	v_fmac_f32_e32 v12, 0xbf75a155, v82
	v_add_f32_e32 v11, v113, v11
	v_mov_b32_e32 v113, v110
	v_mul_f32_e32 v115, 0x3f68dda4, v112
	v_add_f32_e32 v12, v12, v16
	v_fmac_f32_e32 v13, 0x3f575c64, v88
	v_fmac_f32_e32 v113, 0xbf27a4f4, v95
	v_mov_b32_e32 v112, v115
	v_add_f32_e32 v12, v13, v12
	v_fma_f32 v13, v83, s12, -v111
	v_add_f32_e32 v11, v113, v11
	v_fmac_f32_e32 v112, 0x3ed4b147, v101
	v_mul_f32_e32 v114, 0xbf7d64f0, v114
	v_add_f32_e32 v13, v13, v17
	v_fma_f32 v108, v89, s0, -v108
	v_fmac_f32_e32 v66, 0xbf27a4f4, v94
	v_add_f32_e32 v11, v112, v11
	v_mov_b32_e32 v112, v114
	v_add_f32_e32 v13, v108, v13
	v_add_f32_e32 v12, v66, v12
	v_fma_f32 v66, v95, s1, -v110
	v_add_co_u32_e64 v113, s[0:1], 55, v227
	v_mov_b32_e32 v119, v118
	v_fmac_f32_e32 v112, 0xbe11bafb, v106
	v_add_f32_e32 v13, v66, v13
	v_fmac_f32_e32 v67, 0x3ed4b147, v100
	s_movk_i32 s0, 0x6e
	v_fma_f32 v66, v101, s2, -v115
	v_fmac_f32_e32 v119, 0x3ed4b147, v106
	v_add_f32_e32 v11, v112, v11
	v_add_f32_e32 v12, v67, v12
	v_fmac_f32_e32 v109, 0xbe11bafb, v105
	v_add_co_u32_e64 v112, s[0:1], s0, v227
	v_add_f32_e32 v13, v66, v13
	v_fma_f32 v66, v106, s3, -v114
	ds_write2_b64 v230, v[40:41], v[48:49] offset0:2 offset1:3
	ds_write2_b64 v230, v[52:53], v[60:61] offset0:4 offset1:5
	;; [unrolled: 1-line block ×4, first 2 shown]
	ds_write_b64 v230, v[4:5] offset:80
	v_mul_u32_u24_e32 v4, 11, v113
	v_add_f32_e32 v8, v121, v8
	v_add_f32_e32 v9, v119, v9
	;; [unrolled: 1-line block ×4, first 2 shown]
	v_lshlrev_b32_e32 v231, 3, v4
	v_mul_u32_u24_e32 v229, 11, v112
	ds_write2_b64 v231, v[70:71], v[46:47] offset1:1
	ds_write2_b64 v231, v[50:51], v[58:59] offset0:2 offset1:3
	ds_write2_b64 v231, v[62:63], v[74:75] offset0:4 offset1:5
	;; [unrolled: 1-line block ×4, first 2 shown]
	ds_write_b64 v231, v[38:39] offset:80
	s_and_saveexec_b64 s[0:1], vcc
	s_cbranch_execz .LBB0_7
; %bb.6:
	v_mul_f32_e32 v36, 0x3f575c64, v82
	v_mul_f32_e32 v37, 0x3f575c64, v83
	v_mul_f32_e32 v4, 0x3ed4b147, v82
	v_mul_f32_e32 v5, 0x3ed4b147, v83
	v_add_f32_e32 v5, v81, v5
	v_sub_f32_e32 v4, v4, v80
	v_add_f32_e32 v37, v79, v37
	v_sub_f32_e32 v36, v36, v78
	v_add_f32_e32 v5, v5, v17
	v_add_f32_e32 v4, v4, v16
	;; [unrolled: 1-line block ×12, first 2 shown]
	v_mul_f32_e32 v38, 0x3ed4b147, v88
	v_mul_f32_e32 v39, 0x3ed4b147, v89
	v_add_f32_e32 v17, v31, v17
	v_add_f32_e32 v16, v30, v16
	v_mul_f32_e32 v40, 0xbf27a4f4, v88
	v_mul_f32_e32 v41, 0xbf27a4f4, v89
	;; [unrolled: 1-line block ×4, first 2 shown]
	v_add_f32_e32 v39, v85, v39
	v_sub_f32_e32 v38, v38, v84
	v_add_f32_e32 v17, v21, v17
	v_add_f32_e32 v16, v20, v16
	v_mul_f32_e32 v44, 0xbf75a155, v94
	v_mul_f32_e32 v45, 0xbf75a155, v95
	;; [unrolled: 1-line block ×4, first 2 shown]
	v_add_f32_e32 v41, v87, v41
	v_sub_f32_e32 v40, v40, v86
	v_add_f32_e32 v37, v39, v37
	v_add_f32_e32 v39, v91, v43
	;; [unrolled: 1-line block ×3, first 2 shown]
	v_sub_f32_e32 v38, v42, v90
	v_add_f32_e32 v17, v23, v17
	v_add_f32_e32 v16, v22, v16
	v_mul_f32_e32 v48, 0xbe11bafb, v100
	v_mul_f32_e32 v49, 0xbe11bafb, v101
	v_mul_f32_e32 v50, 0xbf75a155, v105
	v_mul_f32_e32 v51, 0xbf75a155, v106
	v_add_f32_e32 v5, v41, v5
	v_add_f32_e32 v41, v93, v45
	;; [unrolled: 1-line block ×3, first 2 shown]
	v_sub_f32_e32 v40, v44, v92
	v_add_f32_e32 v37, v39, v37
	v_add_f32_e32 v39, v97, v47
	v_add_f32_e32 v36, v38, v36
	v_sub_f32_e32 v38, v46, v96
	v_add_f32_e32 v17, v33, v17
	v_add_f32_e32 v16, v32, v16
	v_mul_f32_e32 v52, 0x3f575c64, v105
	v_mul_f32_e32 v53, 0x3f575c64, v106
	v_add_f32_e32 v5, v41, v5
	v_add_f32_e32 v41, v99, v49
	;; [unrolled: 1-line block ×3, first 2 shown]
	v_sub_f32_e32 v40, v48, v98
	v_add_f32_e32 v37, v39, v37
	v_add_f32_e32 v39, v103, v51
	;; [unrolled: 1-line block ×3, first 2 shown]
	v_sub_f32_e32 v38, v50, v102
	v_add_f32_e32 v17, v35, v17
	v_add_f32_e32 v16, v34, v16
	;; [unrolled: 1-line block ×5, first 2 shown]
	v_sub_f32_e32 v40, v52, v104
	v_add_f32_e32 v37, v39, v37
	v_add_f32_e32 v36, v38, v36
	;; [unrolled: 1-line block ×4, first 2 shown]
	v_lshlrev_b32_e32 v18, 3, v229
	v_add_f32_e32 v5, v41, v5
	v_add_f32_e32 v4, v40, v4
	ds_write2_b64 v18, v[16:17], v[36:37] offset1:1
	ds_write2_b64 v18, v[4:5], v[6:7] offset0:2 offset1:3
	ds_write2_b64 v18, v[8:9], v[10:11] offset0:4 offset1:5
	;; [unrolled: 1-line block ×4, first 2 shown]
	ds_write_b64 v18, v[225:226] offset:80
.LBB0_7:
	s_or_b64 exec, exec, s[0:1]
	s_movk_i32 s0, 0xa5
	v_add_co_u32_e64 v114, s[0:1], s0, v227
	s_movk_i32 s0, 0xdc
	v_add_co_u32_e64 v120, s[0:1], s0, v227
	s_movk_i32 s0, 0x75
	v_mul_lo_u16_sdwa v16, v227, s0 dst_sel:DWORD dst_unused:UNUSED_PAD src0_sel:BYTE_0 src1_sel:DWORD
	v_sub_u16_sdwa v17, v227, v16 dst_sel:DWORD dst_unused:UNUSED_PAD src0_sel:DWORD src1_sel:BYTE_1
	v_lshrrev_b16_e32 v17, 1, v17
	v_and_b32_e32 v17, 0x7f, v17
	v_add_u16_sdwa v16, v17, v16 dst_sel:DWORD dst_unused:UNUSED_PAD src0_sel:DWORD src1_sel:BYTE_1
	v_lshrrev_b16_e32 v80, 3, v16
	v_mul_lo_u16_e32 v16, 11, v80
	v_sub_u16_e32 v16, v227, v16
	v_and_b32_e32 v81, 0xff, v16
	v_add_u32_e32 v152, 0x400, v228
	v_add_u32_e32 v155, 0x1000, v228
	;; [unrolled: 1-line block ×6, first 2 shown]
	v_lshlrev_b32_e32 v20, 5, v81
	s_waitcnt lgkmcnt(0)
	; wave barrier
	s_waitcnt lgkmcnt(0)
	ds_read2_b64 v[64:67], v228 offset1:55
	ds_read2_b64 v[56:59], v152 offset0:92 offset1:147
	ds_read2_b64 v[30:33], v155 offset0:38 offset1:93
	;; [unrolled: 1-line block ×11, first 2 shown]
	ds_read_b64 v[4:5], v228 offset:10560
	global_load_dwordx4 v[16:19], v20, s[4:5] offset:16
	s_nop 0
	global_load_dwordx4 v[20:23], v20, s[4:5]
	v_mul_u32_u24_e32 v80, 55, v80
	v_add_lshl_u32 v234, v80, v81, 3
	s_add_u32 s2, s6, 0x2af8
	s_addc_u32 s3, s7, 0
	s_movk_i32 s13, 0x1000
	s_movk_i32 s12, 0x2000
	s_waitcnt vmcnt(1) lgkmcnt(8)
	v_mul_f32_e32 v89, v34, v19
	s_waitcnt vmcnt(0)
	v_mul_f32_e32 v24, v59, v21
	v_fma_f32 v95, v58, v20, -v24
	v_mul_f32_e32 v24, v31, v23
	v_fma_f32 v97, v30, v22, -v24
	;; [unrolled: 2-line block ×4, first 2 shown]
	v_mul_lo_u16_sdwa v24, v113, s0 dst_sel:DWORD dst_unused:UNUSED_PAD src0_sel:BYTE_0 src1_sel:DWORD
	v_sub_u16_sdwa v25, v113, v24 dst_sel:DWORD dst_unused:UNUSED_PAD src0_sel:DWORD src1_sel:BYTE_1
	v_lshrrev_b16_e32 v25, 1, v25
	v_and_b32_e32 v25, 0x7f, v25
	v_add_u16_sdwa v24, v25, v24 dst_sel:DWORD dst_unused:UNUSED_PAD src0_sel:DWORD src1_sel:BYTE_1
	v_mul_f32_e32 v84, v58, v21
	v_lshrrev_b16_e32 v58, 3, v24
	v_mul_lo_u16_e32 v24, 11, v58
	v_sub_u16_e32 v24, v113, v24
	v_fmac_f32_e32 v84, v59, v20
	v_and_b32_e32 v59, 0xff, v24
	v_mul_f32_e32 v85, v30, v23
	v_lshlrev_b32_e32 v28, 5, v59
	v_fmac_f32_e32 v85, v31, v22
	global_load_dwordx4 v[24:27], v28, s[4:5] offset:16
	s_nop 0
	global_load_dwordx4 v[28:31], v28, s[4:5]
	v_mul_f32_e32 v87, v70, v17
	v_fmac_f32_e32 v87, v71, v16
	v_fmac_f32_e32 v89, v35, v18
	s_waitcnt vmcnt(1)
	v_mul_f32_e32 v93, v36, v27
	s_waitcnt vmcnt(0) lgkmcnt(7)
	v_mul_f32_e32 v34, v39, v29
	v_fma_f32 v99, v38, v28, -v34
	v_mul_f32_e32 v34, v33, v31
	v_fma_f32 v101, v32, v30, -v34
	v_mul_f32_e32 v88, v32, v31
	s_waitcnt lgkmcnt(6)
	v_mul_f32_e32 v32, v43, v25
	v_fma_f32 v103, v42, v24, -v32
	v_mul_f32_e32 v32, v37, v27
	v_fma_f32 v108, v36, v26, -v32
	v_mul_lo_u16_sdwa v32, v112, s0 dst_sel:DWORD dst_unused:UNUSED_PAD src0_sel:BYTE_0 src1_sel:DWORD
	v_fmac_f32_e32 v88, v33, v30
	v_sub_u16_sdwa v33, v112, v32 dst_sel:DWORD dst_unused:UNUSED_PAD src0_sel:DWORD src1_sel:BYTE_1
	v_lshrrev_b16_e32 v33, 1, v33
	v_and_b32_e32 v33, 0x7f, v33
	v_add_u16_sdwa v32, v33, v32 dst_sel:DWORD dst_unused:UNUSED_PAD src0_sel:DWORD src1_sel:BYTE_1
	v_lshrrev_b16_e32 v70, 3, v32
	v_mul_lo_u16_e32 v32, 11, v70
	v_sub_u16_e32 v32, v112, v32
	v_and_b32_e32 v71, 0xff, v32
	v_mul_f32_e32 v86, v38, v29
	v_lshlrev_b32_e32 v36, 5, v71
	v_fmac_f32_e32 v86, v39, v28
	v_fmac_f32_e32 v93, v37, v26
	global_load_dwordx4 v[32:35], v36, s[4:5] offset:16
	s_nop 0
	global_load_dwordx4 v[36:39], v36, s[4:5]
	v_mul_f32_e32 v91, v42, v25
	v_fmac_f32_e32 v91, v43, v24
	s_waitcnt vmcnt(1)
	v_mul_f32_e32 v94, v44, v33
	s_waitcnt vmcnt(0)
	v_mul_f32_e32 v42, v41, v37
	v_fma_f32 v104, v40, v36, -v42
	v_mul_f32_e32 v90, v40, v37
	s_waitcnt lgkmcnt(4)
	v_mul_f32_e32 v40, v47, v39
	v_fma_f32 v106, v46, v38, -v40
	v_mul_f32_e32 v40, v45, v33
	v_fma_f32 v107, v44, v32, -v40
	s_waitcnt lgkmcnt(3)
	v_mul_f32_e32 v40, v51, v35
	v_fma_f32 v110, v50, v34, -v40
	v_mul_lo_u16_sdwa v40, v114, s0 dst_sel:DWORD dst_unused:UNUSED_PAD src0_sel:BYTE_0 src1_sel:DWORD
	v_fmac_f32_e32 v90, v41, v36
	v_sub_u16_sdwa v41, v114, v40 dst_sel:DWORD dst_unused:UNUSED_PAD src0_sel:DWORD src1_sel:BYTE_1
	v_lshrrev_b16_e32 v41, 1, v41
	v_and_b32_e32 v41, 0x7f, v41
	v_add_u16_sdwa v40, v41, v40 dst_sel:DWORD dst_unused:UNUSED_PAD src0_sel:DWORD src1_sel:BYTE_1
	v_lshrrev_b16_e32 v82, 3, v40
	v_mul_lo_u16_e32 v40, 11, v82
	v_sub_u16_e32 v40, v114, v40
	v_and_b32_e32 v83, 0xff, v40
	v_mul_f32_e32 v92, v46, v39
	v_lshlrev_b32_e32 v44, 5, v83
	v_fmac_f32_e32 v92, v47, v38
	v_fmac_f32_e32 v94, v45, v32
	global_load_dwordx4 v[40:43], v44, s[4:5] offset:16
	s_nop 0
	global_load_dwordx4 v[44:47], v44, s[4:5]
	v_mul_f32_e32 v96, v50, v35
	s_mov_b32 s0, 0xba2f
	v_fmac_f32_e32 v96, v51, v34
	s_waitcnt vmcnt(1) lgkmcnt(1)
	v_mul_f32_e32 v100, v72, v41
	s_waitcnt vmcnt(0)
	v_mul_f32_e32 v50, v77, v45
	v_fma_f32 v109, v76, v44, -v50
	v_mul_f32_e32 v76, v76, v45
	v_mul_f32_e32 v50, v49, v47
	v_fmac_f32_e32 v76, v77, v44
	v_fma_f32 v111, v48, v46, -v50
	v_mul_f32_e32 v77, v48, v47
	v_mul_f32_e32 v48, v73, v41
	v_fma_f32 v115, v72, v40, -v48
	v_mul_f32_e32 v48, v53, v43
	v_fma_f32 v116, v52, v42, -v48
	v_mul_u32_u24_sdwa v48, v120, s0 dst_sel:DWORD dst_unused:UNUSED_PAD src0_sel:WORD_0 src1_sel:DWORD
	v_lshrrev_b32_e32 v72, 19, v48
	v_mul_lo_u16_e32 v48, 11, v72
	v_fmac_f32_e32 v100, v73, v40
	v_sub_u16_e32 v73, v120, v48
	v_lshlrev_b16_e32 v48, 2, v73
	v_mul_f32_e32 v102, v52, v43
	v_lshlrev_b32_e32 v52, 3, v48
	v_fmac_f32_e32 v77, v49, v46
	v_fmac_f32_e32 v102, v53, v42
	global_load_dwordx4 v[48:51], v52, s[4:5] offset:16
	s_nop 0
	global_load_dwordx4 v[52:55], v52, s[4:5]
	s_waitcnt lgkmcnt(0)
	; wave barrier
	s_waitcnt lgkmcnt(0)
	s_movk_i32 s0, 0x95
	s_waitcnt vmcnt(1)
	v_mul_f32_e32 v129, v4, v51
	s_waitcnt vmcnt(0)
	v_mul_f32_e32 v117, v79, v53
	v_fma_f32 v119, v78, v52, -v117
	v_mul_f32_e32 v123, v78, v53
	v_mul_f32_e32 v78, v69, v55
	v_fma_f32 v124, v68, v54, -v78
	v_mul_f32_e32 v125, v68, v55
	;; [unrolled: 3-line block ×3, first 2 shown]
	v_fmac_f32_e32 v129, v5, v50
	v_add_f32_e32 v5, v97, v98
	v_fma_f32 v128, v4, v50, -v68
	v_fma_f32 v68, -0.5, v5, v64
	v_mul_f32_e32 v127, v74, v49
	v_sub_f32_e32 v5, v84, v89
	v_mov_b32_e32 v74, v68
	v_fmac_f32_e32 v125, v69, v54
	v_fmac_f32_e32 v127, v75, v48
	;; [unrolled: 1-line block ×3, first 2 shown]
	v_sub_f32_e32 v69, v85, v87
	v_sub_f32_e32 v75, v95, v97
	;; [unrolled: 1-line block ×3, first 2 shown]
	v_fmac_f32_e32 v68, 0xbf737871, v5
	v_fmac_f32_e32 v74, 0x3f167918, v69
	v_add_f32_e32 v75, v75, v78
	v_fmac_f32_e32 v68, 0xbf167918, v69
	v_fmac_f32_e32 v74, 0x3e9e377a, v75
	;; [unrolled: 1-line block ×3, first 2 shown]
	v_add_f32_e32 v75, v95, v105
	v_add_f32_e32 v4, v64, v95
	v_fma_f32 v64, -0.5, v75, v64
	v_mov_b32_e32 v78, v64
	v_fmac_f32_e32 v123, v79, v52
	v_fmac_f32_e32 v78, 0xbf737871, v69
	v_sub_f32_e32 v75, v97, v95
	v_sub_f32_e32 v79, v98, v105
	v_fmac_f32_e32 v64, 0x3f737871, v69
	v_add_f32_e32 v69, v85, v87
	v_fmac_f32_e32 v78, 0x3f167918, v5
	v_add_f32_e32 v75, v75, v79
	v_fmac_f32_e32 v64, 0xbf167918, v5
	v_fma_f32 v69, -0.5, v69, v65
	v_add_f32_e32 v4, v4, v97
	v_fmac_f32_e32 v78, 0x3e9e377a, v75
	v_fmac_f32_e32 v64, 0x3e9e377a, v75
	v_sub_f32_e32 v95, v95, v105
	v_mov_b32_e32 v75, v69
	v_add_f32_e32 v4, v4, v98
	v_fmac_f32_e32 v75, 0xbf737871, v95
	v_sub_f32_e32 v97, v97, v98
	v_sub_f32_e32 v79, v84, v85
	;; [unrolled: 1-line block ×3, first 2 shown]
	v_fmac_f32_e32 v69, 0x3f737871, v95
	v_fmac_f32_e32 v75, 0xbf167918, v97
	v_add_f32_e32 v79, v79, v98
	v_fmac_f32_e32 v69, 0x3f167918, v97
	v_add_f32_e32 v5, v65, v84
	v_fmac_f32_e32 v75, 0x3e9e377a, v79
	v_fmac_f32_e32 v69, 0x3e9e377a, v79
	v_add_f32_e32 v79, v84, v89
	v_add_f32_e32 v5, v5, v85
	v_fma_f32 v65, -0.5, v79, v65
	v_sub_f32_e32 v84, v85, v84
	v_sub_f32_e32 v85, v87, v89
	v_mov_b32_e32 v79, v65
	v_add_f32_e32 v84, v84, v85
	v_add_f32_e32 v85, v101, v103
	v_fmac_f32_e32 v79, 0x3f737871, v97
	v_fmac_f32_e32 v65, 0xbf737871, v97
	v_fma_f32 v97, -0.5, v85, v66
	v_add_f32_e32 v5, v5, v87
	v_sub_f32_e32 v85, v86, v93
	v_mov_b32_e32 v117, v97
	v_add_f32_e32 v5, v5, v89
	v_fmac_f32_e32 v79, 0xbf167918, v95
	v_fmac_f32_e32 v65, 0x3f167918, v95
	;; [unrolled: 1-line block ×3, first 2 shown]
	v_sub_f32_e32 v87, v88, v91
	v_sub_f32_e32 v89, v99, v101
	;; [unrolled: 1-line block ×3, first 2 shown]
	v_fmac_f32_e32 v97, 0xbf737871, v85
	v_fmac_f32_e32 v117, 0x3f167918, v87
	v_add_f32_e32 v89, v89, v95
	v_fmac_f32_e32 v97, 0xbf167918, v87
	v_fmac_f32_e32 v117, 0x3e9e377a, v89
	;; [unrolled: 1-line block ×3, first 2 shown]
	v_add_f32_e32 v89, v99, v108
	v_fmac_f32_e32 v79, 0x3e9e377a, v84
	v_fmac_f32_e32 v65, 0x3e9e377a, v84
	v_add_f32_e32 v84, v66, v99
	v_fma_f32 v66, -0.5, v89, v66
	v_mov_b32_e32 v121, v66
	v_fmac_f32_e32 v121, 0xbf737871, v87
	v_fmac_f32_e32 v66, 0x3f737871, v87
	v_add_f32_e32 v87, v88, v91
	v_sub_f32_e32 v89, v101, v99
	v_sub_f32_e32 v95, v103, v108
	v_fma_f32 v98, -0.5, v87, v67
	v_fmac_f32_e32 v121, 0x3f167918, v85
	v_add_f32_e32 v89, v89, v95
	v_fmac_f32_e32 v66, 0xbf167918, v85
	v_sub_f32_e32 v87, v99, v108
	v_mov_b32_e32 v118, v98
	v_fmac_f32_e32 v121, 0x3e9e377a, v89
	v_fmac_f32_e32 v66, 0x3e9e377a, v89
	;; [unrolled: 1-line block ×3, first 2 shown]
	v_sub_f32_e32 v89, v101, v103
	v_sub_f32_e32 v95, v86, v88
	;; [unrolled: 1-line block ×3, first 2 shown]
	v_fmac_f32_e32 v98, 0x3f737871, v87
	v_fmac_f32_e32 v118, 0xbf167918, v89
	v_add_f32_e32 v95, v95, v99
	v_fmac_f32_e32 v98, 0x3f167918, v89
	v_fmac_f32_e32 v118, 0x3e9e377a, v95
	;; [unrolled: 1-line block ×3, first 2 shown]
	v_add_f32_e32 v95, v86, v93
	v_add_f32_e32 v85, v67, v86
	v_fmac_f32_e32 v67, -0.5, v95
	v_mov_b32_e32 v122, v67
	v_fmac_f32_e32 v122, 0x3f737871, v89
	v_fmac_f32_e32 v67, 0xbf737871, v89
	v_add_f32_e32 v85, v85, v88
	v_fmac_f32_e32 v122, 0xbf167918, v87
	v_sub_f32_e32 v86, v88, v86
	v_sub_f32_e32 v88, v91, v93
	v_fmac_f32_e32 v67, 0x3f167918, v87
	v_add_f32_e32 v87, v106, v107
	v_add_f32_e32 v84, v84, v101
	;; [unrolled: 1-line block ×3, first 2 shown]
	v_fma_f32 v88, -0.5, v87, v60
	v_add_f32_e32 v84, v84, v103
	v_add_f32_e32 v85, v85, v91
	v_sub_f32_e32 v87, v90, v96
	v_mov_b32_e32 v103, v88
	v_add_f32_e32 v85, v85, v93
	v_fmac_f32_e32 v103, 0x3f737871, v87
	v_sub_f32_e32 v89, v92, v94
	v_sub_f32_e32 v91, v104, v106
	;; [unrolled: 1-line block ×3, first 2 shown]
	v_fmac_f32_e32 v88, 0xbf737871, v87
	v_fmac_f32_e32 v103, 0x3f167918, v89
	v_add_f32_e32 v91, v91, v93
	v_fmac_f32_e32 v88, 0xbf167918, v89
	v_fmac_f32_e32 v103, 0x3e9e377a, v91
	;; [unrolled: 1-line block ×3, first 2 shown]
	v_add_f32_e32 v91, v104, v110
	v_fmac_f32_e32 v122, 0x3e9e377a, v86
	v_fmac_f32_e32 v67, 0x3e9e377a, v86
	v_add_f32_e32 v86, v60, v104
	v_fma_f32 v60, -0.5, v91, v60
	v_add_f32_e32 v4, v4, v105
	v_mov_b32_e32 v105, v60
	v_fmac_f32_e32 v105, 0xbf737871, v89
	v_sub_f32_e32 v91, v106, v104
	v_sub_f32_e32 v93, v107, v110
	v_fmac_f32_e32 v60, 0x3f737871, v89
	v_add_f32_e32 v89, v92, v94
	v_fmac_f32_e32 v105, 0x3f167918, v87
	v_add_f32_e32 v91, v91, v93
	v_fmac_f32_e32 v60, 0xbf167918, v87
	v_fma_f32 v89, -0.5, v89, v61
	v_fmac_f32_e32 v105, 0x3e9e377a, v91
	v_fmac_f32_e32 v60, 0x3e9e377a, v91
	v_sub_f32_e32 v91, v104, v110
	v_mov_b32_e32 v104, v89
	v_fmac_f32_e32 v104, 0xbf737871, v91
	v_sub_f32_e32 v93, v106, v107
	v_sub_f32_e32 v95, v90, v92
	;; [unrolled: 1-line block ×3, first 2 shown]
	v_fmac_f32_e32 v89, 0x3f737871, v91
	v_fmac_f32_e32 v104, 0xbf167918, v93
	v_add_f32_e32 v95, v95, v99
	v_fmac_f32_e32 v89, 0x3f167918, v93
	v_fmac_f32_e32 v104, 0x3e9e377a, v95
	;; [unrolled: 1-line block ×3, first 2 shown]
	v_add_f32_e32 v95, v90, v96
	v_add_f32_e32 v87, v61, v90
	v_fma_f32 v61, -0.5, v95, v61
	v_add_f32_e32 v86, v86, v106
	v_mov_b32_e32 v106, v61
	v_fmac_f32_e32 v106, 0x3f737871, v93
	v_fmac_f32_e32 v61, 0xbf737871, v93
	v_add_f32_e32 v87, v87, v92
	v_fmac_f32_e32 v106, 0xbf167918, v91
	v_sub_f32_e32 v90, v92, v90
	v_sub_f32_e32 v92, v94, v96
	v_fmac_f32_e32 v61, 0x3f167918, v91
	v_add_f32_e32 v91, v111, v115
	v_add_f32_e32 v90, v90, v92
	v_fma_f32 v92, -0.5, v91, v62
	v_add_f32_e32 v87, v87, v94
	v_sub_f32_e32 v91, v76, v102
	v_mov_b32_e32 v94, v92
	v_add_f32_e32 v87, v87, v96
	v_fmac_f32_e32 v94, 0x3f737871, v91
	v_sub_f32_e32 v93, v77, v100
	v_sub_f32_e32 v95, v109, v111
	;; [unrolled: 1-line block ×3, first 2 shown]
	v_fmac_f32_e32 v92, 0xbf737871, v91
	v_fmac_f32_e32 v94, 0x3f167918, v93
	v_add_f32_e32 v95, v95, v96
	v_fmac_f32_e32 v92, 0xbf167918, v93
	v_fmac_f32_e32 v94, 0x3e9e377a, v95
	;; [unrolled: 1-line block ×3, first 2 shown]
	v_add_f32_e32 v95, v109, v116
	v_fmac_f32_e32 v106, 0x3e9e377a, v90
	v_fmac_f32_e32 v61, 0x3e9e377a, v90
	v_add_f32_e32 v90, v62, v109
	v_fma_f32 v62, -0.5, v95, v62
	v_add_f32_e32 v86, v86, v107
	v_mov_b32_e32 v107, v62
	v_fmac_f32_e32 v107, 0xbf737871, v93
	v_sub_f32_e32 v95, v111, v109
	v_sub_f32_e32 v96, v115, v116
	v_fmac_f32_e32 v62, 0x3f737871, v93
	v_add_f32_e32 v93, v77, v100
	v_fmac_f32_e32 v107, 0x3f167918, v91
	v_add_f32_e32 v95, v95, v96
	v_fmac_f32_e32 v62, 0xbf167918, v91
	v_fma_f32 v93, -0.5, v93, v63
	v_fmac_f32_e32 v107, 0x3e9e377a, v95
	v_fmac_f32_e32 v62, 0x3e9e377a, v95
	v_sub_f32_e32 v96, v109, v116
	v_mov_b32_e32 v95, v93
	v_add_f32_e32 v84, v84, v108
	v_fmac_f32_e32 v95, 0xbf737871, v96
	v_sub_f32_e32 v99, v111, v115
	v_sub_f32_e32 v101, v76, v77
	;; [unrolled: 1-line block ×3, first 2 shown]
	v_fmac_f32_e32 v93, 0x3f737871, v96
	v_fmac_f32_e32 v95, 0xbf167918, v99
	v_add_f32_e32 v101, v101, v108
	v_fmac_f32_e32 v93, 0x3f167918, v99
	v_add_f32_e32 v91, v63, v76
	v_fmac_f32_e32 v95, 0x3e9e377a, v101
	v_fmac_f32_e32 v93, 0x3e9e377a, v101
	v_add_f32_e32 v101, v76, v102
	v_add_f32_e32 v91, v91, v77
	v_fmac_f32_e32 v63, -0.5, v101
	v_sub_f32_e32 v76, v77, v76
	v_sub_f32_e32 v77, v100, v102
	v_mov_b32_e32 v108, v63
	v_add_f32_e32 v76, v76, v77
	v_add_f32_e32 v77, v124, v126
	v_fmac_f32_e32 v108, 0x3f737871, v99
	v_fmac_f32_e32 v63, 0xbf737871, v99
	v_fma_f32 v99, -0.5, v77, v56
	v_add_f32_e32 v91, v91, v100
	v_sub_f32_e32 v77, v123, v129
	v_mov_b32_e32 v101, v99
	v_add_f32_e32 v91, v91, v102
	v_fmac_f32_e32 v108, 0xbf167918, v96
	v_fmac_f32_e32 v63, 0x3f167918, v96
	;; [unrolled: 1-line block ×3, first 2 shown]
	v_sub_f32_e32 v96, v125, v127
	v_sub_f32_e32 v100, v119, v124
	;; [unrolled: 1-line block ×3, first 2 shown]
	v_fmac_f32_e32 v99, 0xbf737871, v77
	v_fmac_f32_e32 v101, 0x3f167918, v96
	v_add_f32_e32 v100, v100, v102
	v_fmac_f32_e32 v99, 0xbf167918, v96
	v_fmac_f32_e32 v101, 0x3e9e377a, v100
	;; [unrolled: 1-line block ×3, first 2 shown]
	v_add_f32_e32 v100, v119, v128
	v_fmac_f32_e32 v108, 0x3e9e377a, v76
	v_fmac_f32_e32 v63, 0x3e9e377a, v76
	v_add_f32_e32 v76, v56, v119
	v_fma_f32 v56, -0.5, v100, v56
	v_mov_b32_e32 v109, v56
	v_fmac_f32_e32 v109, 0xbf737871, v96
	v_sub_f32_e32 v100, v124, v119
	v_sub_f32_e32 v102, v126, v128
	v_fmac_f32_e32 v56, 0x3f737871, v96
	v_fmac_f32_e32 v109, 0x3f167918, v77
	v_add_f32_e32 v100, v100, v102
	v_fmac_f32_e32 v56, 0xbf167918, v77
	v_add_f32_e32 v96, v125, v127
	v_fmac_f32_e32 v109, 0x3e9e377a, v100
	v_fmac_f32_e32 v56, 0x3e9e377a, v100
	v_fma_f32 v100, -0.5, v96, v57
	v_add_f32_e32 v90, v90, v111
	v_sub_f32_e32 v96, v119, v128
	v_mov_b32_e32 v102, v100
	v_add_f32_e32 v86, v86, v110
	v_add_f32_e32 v90, v90, v115
	v_fmac_f32_e32 v102, 0xbf737871, v96
	v_sub_f32_e32 v111, v124, v126
	v_sub_f32_e32 v110, v123, v125
	;; [unrolled: 1-line block ×3, first 2 shown]
	v_fmac_f32_e32 v100, 0x3f737871, v96
	v_fmac_f32_e32 v102, 0xbf167918, v111
	v_add_f32_e32 v110, v110, v115
	v_fmac_f32_e32 v100, 0x3f167918, v111
	v_fmac_f32_e32 v102, 0x3e9e377a, v110
	;; [unrolled: 1-line block ×3, first 2 shown]
	v_add_f32_e32 v110, v123, v129
	v_add_f32_e32 v77, v57, v123
	v_fmac_f32_e32 v57, -0.5, v110
	ds_write2_b64 v234, v[4:5], v[74:75] offset1:11
	ds_write2_b64 v234, v[78:79], v[64:65] offset0:22 offset1:33
	ds_write_b64 v234, v[68:69] offset:352
	v_mul_u32_u24_e32 v4, 55, v58
	v_mov_b32_e32 v110, v57
	v_add_lshl_u32 v235, v4, v59, 3
	v_mul_u32_u24_e32 v4, 55, v70
	v_add_f32_e32 v90, v90, v116
	v_add_f32_e32 v76, v76, v124
	;; [unrolled: 1-line block ×3, first 2 shown]
	v_fmac_f32_e32 v110, 0x3f737871, v111
	v_sub_f32_e32 v115, v125, v123
	v_sub_f32_e32 v116, v127, v129
	v_fmac_f32_e32 v57, 0xbf737871, v111
	v_add_lshl_u32 v224, v4, v71, 3
	v_mul_u32_u24_e32 v4, 55, v82
	v_add_f32_e32 v76, v76, v126
	v_add_f32_e32 v77, v77, v127
	v_fmac_f32_e32 v110, 0xbf167918, v96
	v_add_f32_e32 v115, v115, v116
	v_fmac_f32_e32 v57, 0x3f167918, v96
	v_add_lshl_u32 v236, v4, v83, 3
	v_mad_legacy_u16 v4, v72, 55, v73
	v_add_f32_e32 v76, v76, v128
	v_add_f32_e32 v77, v77, v129
	v_fmac_f32_e32 v110, 0x3e9e377a, v115
	v_fmac_f32_e32 v57, 0x3e9e377a, v115
	v_lshlrev_b32_e32 v4, 3, v4
	v_lshlrev_b32_e32 v115, 5, v227
	ds_write2_b64 v235, v[84:85], v[117:118] offset1:11
	ds_write2_b64 v235, v[121:122], v[66:67] offset0:22 offset1:33
	ds_write_b64 v235, v[97:98] offset:352
	ds_write2_b64 v224, v[86:87], v[103:104] offset1:11
	ds_write2_b64 v224, v[105:106], v[60:61] offset0:22 offset1:33
	ds_write_b64 v224, v[88:89] offset:352
	;; [unrolled: 3-line block ×3, first 2 shown]
	ds_write2_b64 v4, v[76:77], v[101:102] offset1:11
	ds_write2_b64 v4, v[109:110], v[56:57] offset0:22 offset1:33
	buffer_store_dword v4, off, s[20:23], 0 offset:8 ; 4-byte Folded Spill
	ds_write_b64 v4, v[99:100] offset:352
	s_waitcnt lgkmcnt(0)
	; wave barrier
	s_waitcnt lgkmcnt(0)
	ds_read2_b64 v[96:99], v228 offset1:55
	ds_read2_b64 v[88:91], v152 offset0:92 offset1:147
	ds_read2_b64 v[64:67], v155 offset0:38 offset1:93
	ds_read2_b64 v[100:103], v154 offset0:2 offset1:57
	ds_read2_b64 v[68:71], v166 offset0:76 offset1:131
	ds_read2_b64 v[72:75], v153 offset0:74 offset1:129
	ds_read2_b64 v[76:79], v154 offset0:112 offset1:167
	ds_read2_b64 v[92:95], v228 offset0:110 offset1:165
	ds_read2_b64 v[80:83], v155 offset0:148 offset1:203
	ds_read2_b64 v[84:87], v166 offset0:186 offset1:241
	ds_read2_b64 v[108:111], v153 offset0:184 offset1:239
	ds_read2_b64 v[104:107], v156 offset0:94 offset1:149
	ds_read_b64 v[4:5], v228 offset:10560
	global_load_dwordx4 v[56:59], v115, s[4:5] offset:368
	global_load_dwordx4 v[60:63], v115, s[4:5] offset:352
	s_waitcnt vmcnt(1) lgkmcnt(9)
	v_mul_f32_e32 v130, v102, v57
	s_waitcnt vmcnt(0)
	v_mul_f32_e32 v116, v91, v61
	v_fma_f32 v138, v90, v60, -v116
	v_mul_f32_e32 v127, v90, v61
	v_mul_f32_e32 v90, v65, v63
	v_fma_f32 v139, v64, v62, -v90
	v_mul_f32_e32 v129, v64, v63
	v_mul_f32_e32 v64, v103, v57
	v_fma_f32 v142, v102, v56, -v64
	s_waitcnt lgkmcnt(8)
	v_mul_f32_e32 v64, v69, v59
	v_fma_f32 v143, v68, v58, -v64
	s_waitcnt lgkmcnt(7)
	v_mul_f32_e32 v64, v73, v61
	v_fma_f32 v119, v72, v60, -v64
	v_mul_f32_e32 v64, v67, v63
	v_fma_f32 v121, v66, v62, -v64
	s_waitcnt lgkmcnt(6)
	v_mul_f32_e32 v64, v77, v57
	v_fma_f32 v122, v76, v56, -v64
	v_mul_f32_e32 v64, v71, v59
	v_fma_f32 v123, v70, v58, -v64
	v_mul_lo_u16_sdwa v64, v112, s0 dst_sel:DWORD dst_unused:UNUSED_PAD src0_sel:BYTE_0 src1_sel:DWORD
	v_lshrrev_b16_e32 v64, 13, v64
	v_mul_lo_u16_e32 v64, 55, v64
	v_fmac_f32_e32 v130, v103, v56
	v_mul_f32_e32 v103, v72, v61
	v_sub_u16_e32 v90, v112, v64
	v_mov_b32_e32 v72, 5
	v_mul_f32_e32 v131, v68, v59
	v_mul_f32_e32 v116, v66, v63
	;; [unrolled: 1-line block ×3, first 2 shown]
	v_lshlrev_b32_sdwa v68, v72, v90 dst_sel:DWORD dst_unused:UNUSED_PAD src0_sel:DWORD src1_sel:BYTE_0
	v_fmac_f32_e32 v129, v65, v62
	v_fmac_f32_e32 v131, v69, v58
	;; [unrolled: 1-line block ×4, first 2 shown]
	global_load_dwordx4 v[64:67], v68, s[4:5] offset:368
	s_nop 0
	global_load_dwordx4 v[68:71], v68, s[4:5] offset:352
	v_fmac_f32_e32 v103, v73, v60
	v_fmac_f32_e32 v127, v91, v60
	v_mul_f32_e32 v117, v76, v57
	v_fmac_f32_e32 v117, v77, v56
	s_waitcnt vmcnt(1)
	v_mul_f32_e32 v126, v78, v65
	s_waitcnt vmcnt(0)
	v_mul_f32_e32 v73, v75, v69
	v_fma_f32 v132, v74, v68, -v73
	s_waitcnt lgkmcnt(4)
	v_mul_f32_e32 v73, v81, v71
	v_fma_f32 v133, v80, v70, -v73
	v_mul_f32_e32 v73, v79, v65
	v_fma_f32 v136, v78, v64, -v73
	s_waitcnt lgkmcnt(3)
	v_mul_f32_e32 v73, v85, v67
	v_fma_f32 v140, v84, v66, -v73
	v_mul_lo_u16_sdwa v73, v114, s0 dst_sel:DWORD dst_unused:UNUSED_PAD src0_sel:BYTE_0 src1_sel:DWORD
	v_lshrrev_b16_e32 v73, 13, v73
	v_mul_lo_u16_e32 v73, 55, v73
	v_sub_u16_e32 v91, v114, v73
	v_mul_f32_e32 v124, v74, v69
	v_lshlrev_b32_sdwa v76, v72, v91 dst_sel:DWORD dst_unused:UNUSED_PAD src0_sel:DWORD src1_sel:BYTE_0
	v_fmac_f32_e32 v124, v75, v68
	v_fmac_f32_e32 v126, v79, v64
	global_load_dwordx4 v[72:75], v76, s[4:5] offset:368
	s_nop 0
	global_load_dwordx4 v[76:79], v76, s[4:5] offset:352
	v_mul_f32_e32 v125, v80, v71
	s_movk_i32 s0, 0x29e5
	v_fmac_f32_e32 v125, v81, v70
	v_mul_f32_e32 v128, v84, v67
	v_fmac_f32_e32 v128, v85, v66
	s_waitcnt vmcnt(0) lgkmcnt(2)
	v_mul_f32_e32 v80, v109, v77
	v_fma_f32 v134, v108, v76, -v80
	v_mul_f32_e32 v80, v83, v79
	v_fma_f32 v135, v82, v78, -v80
	s_waitcnt lgkmcnt(1)
	v_mul_f32_e32 v80, v105, v73
	v_fma_f32 v137, v104, v72, -v80
	v_mul_f32_e32 v80, v87, v75
	v_fma_f32 v141, v86, v74, -v80
	v_mul_u32_u24_sdwa v80, v120, s0 dst_sel:DWORD dst_unused:UNUSED_PAD src0_sel:WORD_0 src1_sel:DWORD
	v_sub_u16_sdwa v81, v120, v80 dst_sel:DWORD dst_unused:UNUSED_PAD src0_sel:DWORD src1_sel:WORD_1
	v_lshrrev_b16_e32 v81, 1, v81
	v_add_u16_sdwa v80, v81, v80 dst_sel:DWORD dst_unused:UNUSED_PAD src0_sel:DWORD src1_sel:WORD_1
	v_lshrrev_b16_e32 v80, 5, v80
	v_mul_lo_u16_e32 v80, 55, v80
	v_sub_u16_e32 v102, v120, v80
	v_lshlrev_b16_e32 v80, 5, v102
	v_mul_f32_e32 v108, v108, v77
	v_mul_f32_e32 v104, v104, v73
	v_add_co_u32_e64 v84, s[0:1], s4, v80
	v_mov_b32_e32 v80, s5
	v_fmac_f32_e32 v108, v109, v76
	v_mul_f32_e32 v109, v82, v79
	v_fmac_f32_e32 v104, v105, v72
	v_mul_f32_e32 v105, v86, v75
	v_addc_co_u32_e64 v85, s[0:1], 0, v80, s[0:1]
	v_fmac_f32_e32 v109, v83, v78
	v_fmac_f32_e32 v105, v87, v74
	global_load_dwordx4 v[80:83], v[84:85], off offset:368
	s_nop 0
	global_load_dwordx4 v[84:87], v[84:85], off offset:352
	s_waitcnt lgkmcnt(0)
	; wave barrier
	s_waitcnt vmcnt(1) lgkmcnt(0)
	v_mul_f32_e32 v158, v4, v83
	s_waitcnt vmcnt(0)
	v_mul_f32_e32 v144, v111, v85
	v_fma_f32 v146, v110, v84, -v144
	v_mul_f32_e32 v147, v110, v85
	v_mul_f32_e32 v110, v101, v87
	v_fma_f32 v148, v100, v86, -v110
	v_mul_f32_e32 v149, v100, v87
	;; [unrolled: 3-line block ×3, first 2 shown]
	v_fmac_f32_e32 v158, v5, v82
	v_add_f32_e32 v5, v139, v142
	v_fma_f32 v157, v4, v82, -v100
	v_fma_f32 v100, -0.5, v5, v96
	v_mul_f32_e32 v151, v106, v81
	v_sub_f32_e32 v5, v127, v131
	v_mov_b32_e32 v106, v100
	v_fmac_f32_e32 v149, v101, v86
	v_fmac_f32_e32 v151, v107, v80
	;; [unrolled: 1-line block ×3, first 2 shown]
	v_sub_f32_e32 v101, v129, v130
	v_sub_f32_e32 v107, v138, v139
	;; [unrolled: 1-line block ×3, first 2 shown]
	v_fmac_f32_e32 v100, 0xbf737871, v5
	v_fmac_f32_e32 v106, 0x3f167918, v101
	v_add_f32_e32 v107, v107, v110
	v_fmac_f32_e32 v100, 0xbf167918, v101
	v_fmac_f32_e32 v106, 0x3e9e377a, v107
	;; [unrolled: 1-line block ×3, first 2 shown]
	v_add_f32_e32 v107, v138, v143
	v_add_f32_e32 v4, v96, v138
	v_fma_f32 v96, -0.5, v107, v96
	v_mov_b32_e32 v110, v96
	v_fmac_f32_e32 v147, v111, v84
	v_fmac_f32_e32 v110, 0xbf737871, v101
	v_sub_f32_e32 v107, v139, v138
	v_sub_f32_e32 v111, v142, v143
	v_fmac_f32_e32 v96, 0x3f737871, v101
	v_add_f32_e32 v101, v129, v130
	v_fmac_f32_e32 v110, 0x3f167918, v5
	v_add_f32_e32 v107, v107, v111
	v_fmac_f32_e32 v96, 0xbf167918, v5
	v_fma_f32 v101, -0.5, v101, v97
	v_add_f32_e32 v4, v4, v139
	v_fmac_f32_e32 v110, 0x3e9e377a, v107
	v_fmac_f32_e32 v96, 0x3e9e377a, v107
	v_sub_f32_e32 v138, v138, v143
	v_mov_b32_e32 v107, v101
	v_add_f32_e32 v4, v4, v142
	v_fmac_f32_e32 v107, 0xbf737871, v138
	v_sub_f32_e32 v139, v139, v142
	v_sub_f32_e32 v111, v127, v129
	;; [unrolled: 1-line block ×3, first 2 shown]
	v_fmac_f32_e32 v101, 0x3f737871, v138
	v_fmac_f32_e32 v107, 0xbf167918, v139
	v_add_f32_e32 v111, v111, v142
	v_fmac_f32_e32 v101, 0x3f167918, v139
	v_fmac_f32_e32 v107, 0x3e9e377a, v111
	;; [unrolled: 1-line block ×3, first 2 shown]
	v_add_f32_e32 v111, v127, v131
	v_add_f32_e32 v5, v97, v127
	v_fma_f32 v97, -0.5, v111, v97
	v_mov_b32_e32 v111, v97
	v_add_f32_e32 v5, v5, v129
	v_fmac_f32_e32 v111, 0x3f737871, v139
	v_sub_f32_e32 v127, v129, v127
	v_sub_f32_e32 v129, v130, v131
	v_fmac_f32_e32 v97, 0xbf737871, v139
	v_fmac_f32_e32 v111, 0xbf167918, v138
	v_add_f32_e32 v127, v127, v129
	v_fmac_f32_e32 v97, 0x3f167918, v138
	v_fmac_f32_e32 v111, 0x3e9e377a, v127
	;; [unrolled: 1-line block ×3, first 2 shown]
	v_add_f32_e32 v127, v98, v119
	v_add_f32_e32 v127, v127, v121
	;; [unrolled: 1-line block ×5, first 2 shown]
	v_fma_f32 v138, -0.5, v127, v98
	v_add_f32_e32 v5, v5, v130
	v_sub_f32_e32 v127, v103, v118
	v_mov_b32_e32 v142, v138
	v_add_f32_e32 v5, v5, v131
	v_fmac_f32_e32 v142, 0x3f737871, v127
	v_sub_f32_e32 v130, v116, v117
	v_sub_f32_e32 v131, v119, v121
	;; [unrolled: 1-line block ×3, first 2 shown]
	v_fmac_f32_e32 v138, 0xbf737871, v127
	v_fmac_f32_e32 v142, 0x3f167918, v130
	v_add_f32_e32 v131, v131, v139
	v_fmac_f32_e32 v138, 0xbf167918, v130
	v_fmac_f32_e32 v142, 0x3e9e377a, v131
	;; [unrolled: 1-line block ×3, first 2 shown]
	v_add_f32_e32 v131, v119, v123
	v_fma_f32 v98, -0.5, v131, v98
	v_mov_b32_e32 v144, v98
	v_fmac_f32_e32 v144, 0xbf737871, v130
	v_fmac_f32_e32 v98, 0x3f737871, v130
	;; [unrolled: 1-line block ×4, first 2 shown]
	v_add_f32_e32 v127, v99, v103
	v_add_f32_e32 v127, v127, v116
	;; [unrolled: 1-line block ×3, first 2 shown]
	v_sub_f32_e32 v131, v121, v119
	v_sub_f32_e32 v139, v122, v123
	v_add_f32_e32 v130, v127, v118
	v_add_f32_e32 v127, v116, v117
	;; [unrolled: 1-line block ×3, first 2 shown]
	v_fma_f32 v139, -0.5, v127, v99
	v_add_f32_e32 v4, v4, v143
	v_sub_f32_e32 v119, v119, v123
	v_mov_b32_e32 v143, v139
	v_fmac_f32_e32 v143, 0xbf737871, v119
	v_sub_f32_e32 v121, v121, v122
	v_sub_f32_e32 v122, v103, v116
	;; [unrolled: 1-line block ×3, first 2 shown]
	v_fmac_f32_e32 v139, 0x3f737871, v119
	v_fmac_f32_e32 v143, 0xbf167918, v121
	v_add_f32_e32 v122, v122, v123
	v_fmac_f32_e32 v139, 0x3f167918, v121
	v_fmac_f32_e32 v143, 0x3e9e377a, v122
	;; [unrolled: 1-line block ×3, first 2 shown]
	v_add_f32_e32 v122, v103, v118
	v_fmac_f32_e32 v99, -0.5, v122
	v_mov_b32_e32 v145, v99
	v_fmac_f32_e32 v145, 0x3f737871, v121
	v_sub_f32_e32 v103, v116, v103
	v_sub_f32_e32 v116, v117, v118
	v_fmac_f32_e32 v99, 0xbf737871, v121
	v_fmac_f32_e32 v145, 0xbf167918, v119
	v_add_f32_e32 v103, v103, v116
	v_fmac_f32_e32 v99, 0x3f167918, v119
	v_fmac_f32_e32 v145, 0x3e9e377a, v103
	;; [unrolled: 1-line block ×3, first 2 shown]
	v_add_f32_e32 v103, v92, v132
	v_add_f32_e32 v103, v103, v133
	;; [unrolled: 1-line block ×5, first 2 shown]
	v_fma_f32 v118, -0.5, v103, v92
	v_sub_f32_e32 v103, v124, v128
	v_mov_b32_e32 v121, v118
	v_fmac_f32_e32 v121, 0x3f737871, v103
	v_sub_f32_e32 v117, v125, v126
	v_sub_f32_e32 v119, v132, v133
	;; [unrolled: 1-line block ×3, first 2 shown]
	v_fmac_f32_e32 v118, 0xbf737871, v103
	v_fmac_f32_e32 v121, 0x3f167918, v117
	v_add_f32_e32 v119, v119, v122
	v_fmac_f32_e32 v118, 0xbf167918, v117
	v_fmac_f32_e32 v121, 0x3e9e377a, v119
	;; [unrolled: 1-line block ×3, first 2 shown]
	v_add_f32_e32 v119, v132, v140
	v_fma_f32 v92, -0.5, v119, v92
	v_fmac_f32_e32 v144, 0x3e9e377a, v131
	v_fmac_f32_e32 v98, 0x3e9e377a, v131
	v_mov_b32_e32 v131, v92
	v_fmac_f32_e32 v131, 0xbf737871, v117
	v_fmac_f32_e32 v92, 0x3f737871, v117
	;; [unrolled: 1-line block ×4, first 2 shown]
	v_add_f32_e32 v103, v93, v124
	v_add_f32_e32 v103, v103, v125
	v_sub_f32_e32 v119, v133, v132
	v_sub_f32_e32 v122, v136, v140
	v_add_f32_e32 v103, v103, v126
	v_add_f32_e32 v119, v119, v122
	;; [unrolled: 1-line block ×4, first 2 shown]
	v_fmac_f32_e32 v131, 0x3e9e377a, v119
	v_fmac_f32_e32 v92, 0x3e9e377a, v119
	v_fma_f32 v119, -0.5, v103, v93
	v_sub_f32_e32 v103, v132, v140
	v_mov_b32_e32 v122, v119
	v_fmac_f32_e32 v122, 0xbf737871, v103
	v_sub_f32_e32 v123, v133, v136
	v_sub_f32_e32 v127, v124, v125
	;; [unrolled: 1-line block ×3, first 2 shown]
	v_fmac_f32_e32 v119, 0x3f737871, v103
	v_fmac_f32_e32 v122, 0xbf167918, v123
	v_add_f32_e32 v127, v127, v132
	v_fmac_f32_e32 v119, 0x3f167918, v123
	v_fmac_f32_e32 v122, 0x3e9e377a, v127
	;; [unrolled: 1-line block ×3, first 2 shown]
	v_add_f32_e32 v127, v124, v128
	v_fma_f32 v93, -0.5, v127, v93
	v_mov_b32_e32 v132, v93
	v_fmac_f32_e32 v132, 0x3f737871, v123
	v_fmac_f32_e32 v93, 0xbf737871, v123
	v_fmac_f32_e32 v132, 0xbf167918, v103
	v_fmac_f32_e32 v93, 0x3f167918, v103
	v_add_f32_e32 v103, v94, v134
	v_add_f32_e32 v103, v103, v135
	;; [unrolled: 1-line block ×3, first 2 shown]
	v_sub_f32_e32 v124, v125, v124
	v_sub_f32_e32 v125, v126, v128
	v_add_f32_e32 v123, v103, v141
	v_add_f32_e32 v103, v135, v137
	;; [unrolled: 1-line block ×3, first 2 shown]
	v_fma_f32 v125, -0.5, v103, v94
	v_sub_f32_e32 v103, v108, v105
	v_mov_b32_e32 v127, v125
	v_fmac_f32_e32 v132, 0x3e9e377a, v124
	v_fmac_f32_e32 v93, 0x3e9e377a, v124
	;; [unrolled: 1-line block ×3, first 2 shown]
	v_sub_f32_e32 v124, v109, v104
	v_sub_f32_e32 v126, v134, v135
	;; [unrolled: 1-line block ×3, first 2 shown]
	v_fmac_f32_e32 v125, 0xbf737871, v103
	v_fmac_f32_e32 v127, 0x3f167918, v124
	v_add_f32_e32 v126, v126, v128
	v_fmac_f32_e32 v125, 0xbf167918, v124
	v_fmac_f32_e32 v127, 0x3e9e377a, v126
	;; [unrolled: 1-line block ×3, first 2 shown]
	v_add_f32_e32 v126, v134, v141
	v_fma_f32 v94, -0.5, v126, v94
	v_mov_b32_e32 v133, v94
	v_fmac_f32_e32 v133, 0xbf737871, v124
	v_fmac_f32_e32 v94, 0x3f737871, v124
	;; [unrolled: 1-line block ×4, first 2 shown]
	v_add_f32_e32 v103, v95, v108
	v_add_f32_e32 v103, v103, v109
	v_sub_f32_e32 v126, v135, v134
	v_sub_f32_e32 v128, v137, v141
	v_add_f32_e32 v103, v103, v104
	v_add_f32_e32 v126, v126, v128
	;; [unrolled: 1-line block ×4, first 2 shown]
	v_fmac_f32_e32 v133, 0x3e9e377a, v126
	v_fmac_f32_e32 v94, 0x3e9e377a, v126
	v_fma_f32 v126, -0.5, v103, v95
	v_sub_f32_e32 v103, v134, v141
	v_mov_b32_e32 v128, v126
	v_fmac_f32_e32 v128, 0xbf737871, v103
	v_sub_f32_e32 v135, v135, v137
	v_sub_f32_e32 v134, v108, v109
	;; [unrolled: 1-line block ×3, first 2 shown]
	v_fmac_f32_e32 v126, 0x3f737871, v103
	v_fmac_f32_e32 v128, 0xbf167918, v135
	v_add_f32_e32 v134, v134, v136
	v_fmac_f32_e32 v126, 0x3f167918, v135
	v_fmac_f32_e32 v128, 0x3e9e377a, v134
	;; [unrolled: 1-line block ×3, first 2 shown]
	v_add_f32_e32 v134, v108, v105
	v_fmac_f32_e32 v95, -0.5, v134
	v_mov_b32_e32 v134, v95
	v_fmac_f32_e32 v134, 0x3f737871, v135
	v_sub_f32_e32 v108, v109, v108
	v_sub_f32_e32 v104, v104, v105
	v_fmac_f32_e32 v95, 0xbf737871, v135
	v_fmac_f32_e32 v134, 0xbf167918, v103
	v_add_f32_e32 v104, v108, v104
	v_fmac_f32_e32 v95, 0x3f167918, v103
	v_fmac_f32_e32 v134, 0x3e9e377a, v104
	;; [unrolled: 1-line block ×3, first 2 shown]
	v_add_f32_e32 v104, v148, v150
	v_fma_f32 v108, -0.5, v104, v88
	v_sub_f32_e32 v104, v147, v158
	v_mov_b32_e32 v135, v108
	v_fmac_f32_e32 v135, 0x3f737871, v104
	v_sub_f32_e32 v105, v149, v151
	v_sub_f32_e32 v109, v146, v148
	;; [unrolled: 1-line block ×3, first 2 shown]
	v_fmac_f32_e32 v108, 0xbf737871, v104
	v_fmac_f32_e32 v135, 0x3f167918, v105
	v_add_f32_e32 v109, v109, v136
	v_fmac_f32_e32 v108, 0xbf167918, v105
	v_fmac_f32_e32 v135, 0x3e9e377a, v109
	;; [unrolled: 1-line block ×3, first 2 shown]
	v_add_f32_e32 v109, v146, v157
	v_add_f32_e32 v103, v88, v146
	v_fma_f32 v88, -0.5, v109, v88
	v_mov_b32_e32 v140, v88
	v_fmac_f32_e32 v140, 0xbf737871, v105
	v_sub_f32_e32 v109, v148, v146
	v_sub_f32_e32 v136, v150, v157
	v_fmac_f32_e32 v88, 0x3f737871, v105
	v_fmac_f32_e32 v140, 0x3f167918, v104
	v_add_f32_e32 v109, v109, v136
	v_fmac_f32_e32 v88, 0xbf167918, v104
	v_add_f32_e32 v105, v149, v151
	v_fmac_f32_e32 v140, 0x3e9e377a, v109
	v_fmac_f32_e32 v88, 0x3e9e377a, v109
	v_fma_f32 v109, -0.5, v105, v89
	v_sub_f32_e32 v105, v146, v157
	v_mov_b32_e32 v136, v109
	v_fmac_f32_e32 v136, 0xbf737871, v105
	v_sub_f32_e32 v137, v148, v150
	v_sub_f32_e32 v141, v147, v149
	;; [unrolled: 1-line block ×3, first 2 shown]
	v_fmac_f32_e32 v109, 0x3f737871, v105
	v_fmac_f32_e32 v136, 0xbf167918, v137
	v_add_f32_e32 v141, v141, v146
	v_fmac_f32_e32 v109, 0x3f167918, v137
	ds_write2_b64 v228, v[4:5], v[106:107] offset1:55
	ds_write2_b64 v228, v[110:111], v[96:97] offset0:110 offset1:165
	ds_write2_b64 v152, v[100:101], v[129:130] offset0:92 offset1:147
	;; [unrolled: 1-line block ×4, first 2 shown]
	v_mov_b32_e32 v4, 3
	v_fmac_f32_e32 v136, 0x3e9e377a, v141
	v_fmac_f32_e32 v109, 0x3e9e377a, v141
	v_add_f32_e32 v141, v147, v158
	v_lshlrev_b32_sdwa v90, v4, v90 dst_sel:DWORD dst_unused:UNUSED_PAD src0_sel:DWORD src1_sel:BYTE_0
	v_add_f32_e32 v104, v89, v147
	v_fmac_f32_e32 v89, -0.5, v141
	v_add_u32_e32 v5, 0x1000, v90
	v_mov_b32_e32 v141, v89
	ds_write2_b64 v5, v[116:117], v[121:122] offset0:38 offset1:93
	ds_write2_b64 v5, v[131:132], v[92:93] offset0:148 offset1:203
	v_lshlrev_b32_sdwa v5, v4, v91 dst_sel:DWORD dst_unused:UNUSED_PAD src0_sel:DWORD src1_sel:BYTE_0
	v_add_f32_e32 v103, v103, v148
	v_add_f32_e32 v104, v104, v149
	v_fmac_f32_e32 v141, 0x3f737871, v137
	v_sub_f32_e32 v146, v149, v147
	v_sub_f32_e32 v147, v151, v158
	v_fmac_f32_e32 v89, 0xbf737871, v137
	v_add_u32_e32 v4, 0x1800, v5
	v_add_f32_e32 v103, v103, v150
	v_add_f32_e32 v104, v104, v151
	v_fmac_f32_e32 v141, 0xbf167918, v105
	v_add_f32_e32 v146, v146, v147
	v_fmac_f32_e32 v89, 0x3f167918, v105
	buffer_store_dword v90, off, s[20:23], 0 offset:12 ; 4-byte Folded Spill
	ds_write_b64 v90, v[118:119] offset:6160
	ds_write2_b64 v4, v[123:124], v[127:128] offset0:57 offset1:112
	ds_write2_b64 v4, v[133:134], v[94:95] offset0:167 offset1:222
	buffer_store_dword v5, off, s[20:23], 0 offset:16 ; 4-byte Folded Spill
	ds_write_b64 v5, v[125:126] offset:8360
	v_lshlrev_b32_e32 v5, 3, v102
	v_add_f32_e32 v103, v103, v157
	v_add_f32_e32 v104, v104, v158
	v_fmac_f32_e32 v141, 0x3e9e377a, v146
	v_fmac_f32_e32 v89, 0x3e9e377a, v146
	v_add_u32_e32 v4, 0x2000, v5
	ds_write2_b64 v4, v[103:104], v[135:136] offset0:76 offset1:131
	ds_write2_b64 v4, v[140:141], v[88:89] offset0:186 offset1:241
	buffer_store_dword v5, off, s[20:23], 0 offset:20 ; 4-byte Folded Spill
	ds_write_b64 v5, v[108:109] offset:10560
	s_waitcnt lgkmcnt(0)
	; wave barrier
	s_waitcnt lgkmcnt(0)
	ds_read2_b64 v[136:139], v228 offset1:55
	ds_read2_b64 v[128:131], v152 offset0:92 offset1:147
	ds_read2_b64 v[102:105], v155 offset0:38 offset1:93
	;; [unrolled: 1-line block ×11, first 2 shown]
	ds_read_b64 v[4:5], v228 offset:10560
	global_load_dwordx4 v[88:91], v115, s[4:5] offset:2128
	global_load_dwordx4 v[92:95], v115, s[4:5] offset:2112
	v_lshlrev_b32_e32 v100, 5, v113
	s_waitcnt vmcnt(1) lgkmcnt(8)
	v_mul_f32_e32 v167, v106, v91
	s_waitcnt vmcnt(0)
	v_mul_f32_e32 v96, v131, v93
	v_fma_f32 v174, v130, v92, -v96
	v_mul_f32_e32 v96, v103, v95
	v_fma_f32 v175, v102, v94, -v96
	v_mul_f32_e32 v96, v143, v89
	v_mul_f32_e32 v162, v102, v95
	v_fma_f32 v240, v142, v88, -v96
	v_mul_f32_e32 v96, v107, v91
	v_fmac_f32_e32 v162, v103, v94
	v_fma_f32 v243, v106, v90, -v96
	global_load_dwordx4 v[96:99], v100, s[4:5] offset:2128
	s_nop 0
	global_load_dwordx4 v[100:103], v100, s[4:5] offset:2112
	v_fmac_f32_e32 v167, v107, v90
	v_mul_f32_e32 v158, v130, v93
	v_mul_f32_e32 v164, v142, v89
	v_fmac_f32_e32 v158, v131, v92
	v_fmac_f32_e32 v164, v143, v88
	s_waitcnt vmcnt(1)
	v_mul_f32_e32 v165, v108, v99
	s_waitcnt vmcnt(0) lgkmcnt(7)
	v_mul_f32_e32 v106, v117, v101
	v_fma_f32 v171, v116, v100, -v106
	v_mul_f32_e32 v106, v105, v103
	v_fma_f32 v172, v104, v102, -v106
	v_mul_f32_e32 v159, v104, v103
	s_waitcnt lgkmcnt(6)
	v_mul_f32_e32 v104, v122, v97
	v_fma_f32 v176, v121, v96, -v104
	v_mul_f32_e32 v104, v109, v99
	v_fma_f32 v242, v108, v98, -v104
	v_lshlrev_b32_e32 v108, 5, v112
	v_fmac_f32_e32 v159, v105, v102
	v_fmac_f32_e32 v165, v109, v98
	global_load_dwordx4 v[104:107], v108, s[4:5] offset:2128
	s_nop 0
	global_load_dwordx4 v[108:111], v108, s[4:5] offset:2112
	v_mul_f32_e32 v143, v116, v101
	v_lshlrev_b32_e32 v116, 5, v114
	v_fmac_f32_e32 v143, v117, v100
	v_mul_f32_e32 v161, v121, v97
	v_fmac_f32_e32 v161, v122, v96
	s_waitcnt vmcnt(1)
	v_mul_f32_e32 v160, v123, v105
	s_waitcnt vmcnt(0)
	v_mul_f32_e32 v112, v119, v109
	v_fma_f32 v169, v118, v108, -v112
	s_waitcnt lgkmcnt(4)
	v_mul_f32_e32 v112, v245, v111
	v_fma_f32 v170, v244, v110, -v112
	v_mul_f32_e32 v112, v124, v105
	v_mul_f32_e32 v131, v118, v109
	v_fma_f32 v173, v123, v104, -v112
	s_waitcnt lgkmcnt(3)
	v_mul_f32_e32 v112, v249, v107
	v_fmac_f32_e32 v131, v119, v108
	v_fma_f32 v241, v248, v106, -v112
	global_load_dwordx4 v[112:115], v116, s[4:5] offset:2128
	s_nop 0
	global_load_dwordx4 v[116:119], v116, s[4:5] offset:2112
	v_fmac_f32_e32 v160, v124, v104
	v_lshlrev_b32_e32 v124, 5, v120
	v_mul_f32_e32 v163, v248, v107
	v_fmac_f32_e32 v163, v249, v106
	v_mul_f32_e32 v157, v244, v111
	v_fmac_f32_e32 v157, v245, v110
	s_waitcnt vmcnt(0) lgkmcnt(2)
	v_mul_f32_e32 v121, v149, v117
	v_fma_f32 v168, v148, v116, -v121
	v_mul_f32_e32 v121, v247, v119
	v_mul_f32_e32 v130, v148, v117
	v_fma_f32 v148, v246, v118, -v121
	s_waitcnt lgkmcnt(1)
	v_mul_f32_e32 v121, v145, v113
	v_fmac_f32_e32 v130, v149, v116
	v_fma_f32 v149, v144, v112, -v121
	v_mul_f32_e32 v121, v251, v115
	v_fma_f32 v177, v250, v114, -v121
	global_load_dwordx4 v[120:123], v124, s[4:5] offset:2128
	s_nop 0
	global_load_dwordx4 v[124:127], v124, s[4:5] offset:2112
	v_mul_f32_e32 v142, v246, v119
	v_fmac_f32_e32 v142, v247, v118
	v_mul_f32_e32 v144, v144, v113
	v_fmac_f32_e32 v144, v145, v112
	;; [unrolled: 2-line block ×3, first 2 shown]
	s_waitcnt vmcnt(1) lgkmcnt(0)
	v_mul_f32_e32 v252, v4, v123
	s_waitcnt vmcnt(0)
	v_mul_f32_e32 v232, v151, v125
	v_fma_f32 v232, v150, v124, -v232
	v_mul_f32_e32 v233, v150, v125
	v_mul_f32_e32 v150, v141, v127
	v_fma_f32 v247, v140, v126, -v150
	v_mul_f32_e32 v248, v140, v127
	;; [unrolled: 3-line block ×3, first 2 shown]
	v_fma_f32 v251, v4, v122, -v140
	v_add_f32_e32 v4, v136, v174
	v_add_f32_e32 v4, v4, v175
	;; [unrolled: 1-line block ×5, first 2 shown]
	v_mul_f32_e32 v250, v146, v121
	v_fma_f32 v146, -0.5, v4, v136
	v_sub_f32_e32 v4, v158, v167
	v_mov_b32_e32 v150, v146
	v_fmac_f32_e32 v248, v141, v126
	v_fmac_f32_e32 v250, v147, v120
	;; [unrolled: 1-line block ×4, first 2 shown]
	v_sub_f32_e32 v5, v162, v164
	v_sub_f32_e32 v141, v174, v175
	v_sub_f32_e32 v147, v243, v240
	v_fmac_f32_e32 v146, 0xbf737871, v4
	v_fmac_f32_e32 v150, 0x3f167918, v5
	v_add_f32_e32 v141, v141, v147
	v_fmac_f32_e32 v146, 0xbf167918, v5
	v_fmac_f32_e32 v150, 0x3e9e377a, v141
	;; [unrolled: 1-line block ×3, first 2 shown]
	v_add_f32_e32 v141, v174, v243
	v_fma_f32 v136, -0.5, v141, v136
	v_mov_b32_e32 v237, v136
	v_fmac_f32_e32 v237, 0xbf737871, v5
	v_fmac_f32_e32 v136, 0x3f737871, v5
	;; [unrolled: 1-line block ×4, first 2 shown]
	v_add_f32_e32 v4, v137, v158
	v_sub_f32_e32 v141, v175, v174
	v_sub_f32_e32 v147, v240, v243
	v_add_f32_e32 v4, v4, v162
	v_add_f32_e32 v141, v141, v147
	;; [unrolled: 1-line block ×3, first 2 shown]
	v_fmac_f32_e32 v237, 0x3e9e377a, v141
	v_fmac_f32_e32 v136, 0x3e9e377a, v141
	v_add_f32_e32 v141, v4, v167
	v_add_f32_e32 v4, v162, v164
	v_fma_f32 v147, -0.5, v4, v137
	v_fmac_f32_e32 v233, v151, v124
	v_sub_f32_e32 v4, v174, v243
	v_mov_b32_e32 v151, v147
	v_fmac_f32_e32 v151, 0xbf737871, v4
	v_sub_f32_e32 v5, v175, v240
	v_sub_f32_e32 v174, v158, v162
	;; [unrolled: 1-line block ×3, first 2 shown]
	v_fmac_f32_e32 v147, 0x3f737871, v4
	v_fmac_f32_e32 v151, 0xbf167918, v5
	v_add_f32_e32 v174, v174, v175
	v_fmac_f32_e32 v147, 0x3f167918, v5
	v_fmac_f32_e32 v151, 0x3e9e377a, v174
	;; [unrolled: 1-line block ×3, first 2 shown]
	v_add_f32_e32 v174, v158, v167
	v_fma_f32 v137, -0.5, v174, v137
	v_mov_b32_e32 v238, v137
	v_fmac_f32_e32 v238, 0x3f737871, v5
	v_fmac_f32_e32 v137, 0xbf737871, v5
	;; [unrolled: 1-line block ×4, first 2 shown]
	v_add_f32_e32 v4, v138, v171
	v_add_f32_e32 v4, v4, v172
	v_add_f32_e32 v4, v4, v176
	v_add_f32_e32 v174, v4, v242
	v_add_f32_e32 v4, v172, v176
	v_sub_f32_e32 v158, v162, v158
	v_sub_f32_e32 v162, v164, v167
	v_fma_f32 v239, -0.5, v4, v138
	v_add_f32_e32 v158, v158, v162
	v_sub_f32_e32 v4, v143, v165
	v_mov_b32_e32 v243, v239
	v_fmac_f32_e32 v238, 0x3e9e377a, v158
	v_fmac_f32_e32 v137, 0x3e9e377a, v158
	v_fmac_f32_e32 v243, 0x3f737871, v4
	v_sub_f32_e32 v5, v159, v161
	v_sub_f32_e32 v158, v171, v172
	;; [unrolled: 1-line block ×3, first 2 shown]
	v_fmac_f32_e32 v239, 0xbf737871, v4
	v_fmac_f32_e32 v243, 0x3f167918, v5
	v_add_f32_e32 v158, v158, v162
	v_fmac_f32_e32 v239, 0xbf167918, v5
	v_fmac_f32_e32 v243, 0x3e9e377a, v158
	;; [unrolled: 1-line block ×3, first 2 shown]
	v_add_f32_e32 v158, v171, v242
	v_fma_f32 v138, -0.5, v158, v138
	v_mov_b32_e32 v245, v138
	v_fmac_f32_e32 v245, 0xbf737871, v5
	v_fmac_f32_e32 v138, 0x3f737871, v5
	;; [unrolled: 1-line block ×4, first 2 shown]
	v_add_f32_e32 v4, v139, v143
	v_add_f32_e32 v4, v4, v159
	;; [unrolled: 1-line block ×5, first 2 shown]
	v_sub_f32_e32 v158, v172, v171
	v_sub_f32_e32 v162, v176, v242
	v_fma_f32 v240, -0.5, v4, v139
	v_add_f32_e32 v158, v158, v162
	v_sub_f32_e32 v4, v171, v242
	v_mov_b32_e32 v244, v240
	v_fmac_f32_e32 v245, 0x3e9e377a, v158
	v_fmac_f32_e32 v138, 0x3e9e377a, v158
	v_fmac_f32_e32 v244, 0xbf737871, v4
	v_sub_f32_e32 v5, v172, v176
	v_sub_f32_e32 v158, v143, v159
	;; [unrolled: 1-line block ×3, first 2 shown]
	v_fmac_f32_e32 v240, 0x3f737871, v4
	v_fmac_f32_e32 v244, 0xbf167918, v5
	v_add_f32_e32 v158, v158, v162
	v_fmac_f32_e32 v240, 0x3f167918, v5
	v_fmac_f32_e32 v244, 0x3e9e377a, v158
	;; [unrolled: 1-line block ×3, first 2 shown]
	v_add_f32_e32 v158, v143, v165
	v_fmac_f32_e32 v139, -0.5, v158
	v_mov_b32_e32 v246, v139
	v_fmac_f32_e32 v246, 0x3f737871, v5
	v_fmac_f32_e32 v139, 0xbf737871, v5
	;; [unrolled: 1-line block ×4, first 2 shown]
	v_add_f32_e32 v4, v132, v169
	v_add_f32_e32 v4, v4, v170
	v_sub_f32_e32 v143, v159, v143
	v_sub_f32_e32 v158, v161, v165
	v_add_f32_e32 v4, v4, v173
	v_add_f32_e32 v143, v143, v158
	;; [unrolled: 1-line block ×4, first 2 shown]
	v_fma_f32 v161, -0.5, v4, v132
	v_sub_f32_e32 v4, v131, v163
	v_mov_b32_e32 v164, v161
	v_fmac_f32_e32 v246, 0x3e9e377a, v143
	v_fmac_f32_e32 v139, 0x3e9e377a, v143
	;; [unrolled: 1-line block ×3, first 2 shown]
	v_sub_f32_e32 v5, v157, v160
	v_sub_f32_e32 v143, v169, v170
	;; [unrolled: 1-line block ×3, first 2 shown]
	v_fmac_f32_e32 v161, 0xbf737871, v4
	v_fmac_f32_e32 v164, 0x3f167918, v5
	v_add_f32_e32 v143, v143, v159
	v_fmac_f32_e32 v161, 0xbf167918, v5
	v_fmac_f32_e32 v164, 0x3e9e377a, v143
	;; [unrolled: 1-line block ×3, first 2 shown]
	v_add_f32_e32 v143, v169, v241
	v_fma_f32 v132, -0.5, v143, v132
	v_mov_b32_e32 v171, v132
	v_fmac_f32_e32 v171, 0xbf737871, v5
	v_fmac_f32_e32 v132, 0x3f737871, v5
	;; [unrolled: 1-line block ×4, first 2 shown]
	v_add_f32_e32 v4, v133, v131
	v_add_f32_e32 v4, v4, v157
	v_sub_f32_e32 v143, v170, v169
	v_sub_f32_e32 v159, v173, v241
	v_add_f32_e32 v4, v4, v160
	v_add_f32_e32 v143, v143, v159
	;; [unrolled: 1-line block ×4, first 2 shown]
	v_fma_f32 v162, -0.5, v4, v133
	v_sub_f32_e32 v4, v169, v241
	v_mov_b32_e32 v165, v162
	v_fmac_f32_e32 v171, 0x3e9e377a, v143
	v_fmac_f32_e32 v132, 0x3e9e377a, v143
	;; [unrolled: 1-line block ×3, first 2 shown]
	v_sub_f32_e32 v5, v170, v173
	v_sub_f32_e32 v143, v131, v157
	;; [unrolled: 1-line block ×3, first 2 shown]
	v_fmac_f32_e32 v162, 0x3f737871, v4
	v_fmac_f32_e32 v165, 0xbf167918, v5
	v_add_f32_e32 v143, v143, v167
	v_fmac_f32_e32 v162, 0x3f167918, v5
	v_fmac_f32_e32 v165, 0x3e9e377a, v143
	;; [unrolled: 1-line block ×3, first 2 shown]
	v_add_f32_e32 v143, v131, v163
	v_fma_f32 v133, -0.5, v143, v133
	v_mov_b32_e32 v172, v133
	v_fmac_f32_e32 v172, 0x3f737871, v5
	v_fmac_f32_e32 v133, 0xbf737871, v5
	;; [unrolled: 1-line block ×4, first 2 shown]
	v_add_f32_e32 v4, v134, v168
	v_add_f32_e32 v4, v4, v148
	;; [unrolled: 1-line block ×5, first 2 shown]
	v_sub_f32_e32 v131, v157, v131
	v_sub_f32_e32 v143, v160, v163
	v_fma_f32 v241, -0.5, v4, v134
	v_add_f32_e32 v131, v131, v143
	v_sub_f32_e32 v4, v130, v145
	v_mov_b32_e32 v167, v241
	v_fmac_f32_e32 v172, 0x3e9e377a, v131
	v_fmac_f32_e32 v133, 0x3e9e377a, v131
	v_fmac_f32_e32 v167, 0x3f737871, v4
	v_sub_f32_e32 v5, v142, v144
	v_sub_f32_e32 v131, v168, v148
	;; [unrolled: 1-line block ×3, first 2 shown]
	v_fmac_f32_e32 v241, 0xbf737871, v4
	v_fmac_f32_e32 v167, 0x3f167918, v5
	v_add_f32_e32 v131, v131, v143
	v_fmac_f32_e32 v241, 0xbf167918, v5
	v_fmac_f32_e32 v167, 0x3e9e377a, v131
	;; [unrolled: 1-line block ×3, first 2 shown]
	v_add_f32_e32 v131, v168, v177
	v_fma_f32 v134, -0.5, v131, v134
	v_mov_b32_e32 v176, v134
	v_fmac_f32_e32 v176, 0xbf737871, v5
	v_fmac_f32_e32 v134, 0x3f737871, v5
	;; [unrolled: 1-line block ×4, first 2 shown]
	v_add_f32_e32 v4, v135, v130
	v_add_f32_e32 v4, v4, v142
	;; [unrolled: 1-line block ×5, first 2 shown]
	v_sub_f32_e32 v131, v148, v168
	v_sub_f32_e32 v143, v149, v177
	v_fma_f32 v242, -0.5, v4, v135
	v_add_f32_e32 v131, v131, v143
	v_sub_f32_e32 v4, v168, v177
	v_mov_b32_e32 v168, v242
	v_fmac_f32_e32 v176, 0x3e9e377a, v131
	v_fmac_f32_e32 v134, 0x3e9e377a, v131
	;; [unrolled: 1-line block ×3, first 2 shown]
	v_sub_f32_e32 v5, v148, v149
	v_sub_f32_e32 v131, v130, v142
	;; [unrolled: 1-line block ×3, first 2 shown]
	v_fmac_f32_e32 v242, 0x3f737871, v4
	v_fmac_f32_e32 v168, 0xbf167918, v5
	v_add_f32_e32 v131, v131, v143
	v_fmac_f32_e32 v242, 0x3f167918, v5
	v_fmac_f32_e32 v168, 0x3e9e377a, v131
	;; [unrolled: 1-line block ×3, first 2 shown]
	v_add_f32_e32 v131, v130, v145
	v_fmac_f32_e32 v135, -0.5, v131
	v_mov_b32_e32 v177, v135
	v_fmac_f32_e32 v177, 0x3f737871, v5
	v_fmac_f32_e32 v135, 0xbf737871, v5
	;; [unrolled: 1-line block ×4, first 2 shown]
	v_add_f32_e32 v4, v128, v232
	v_add_f32_e32 v4, v4, v247
	;; [unrolled: 1-line block ×3, first 2 shown]
	v_sub_f32_e32 v130, v142, v130
	v_add_f32_e32 v142, v4, v251
	v_add_f32_e32 v4, v247, v249
	v_sub_f32_e32 v131, v144, v145
	v_fma_f32 v4, -0.5, v4, v128
	v_add_f32_e32 v130, v130, v131
	v_sub_f32_e32 v5, v233, v252
	v_mov_b32_e32 v144, v4
	v_fmac_f32_e32 v177, 0x3e9e377a, v130
	v_fmac_f32_e32 v135, 0x3e9e377a, v130
	;; [unrolled: 1-line block ×3, first 2 shown]
	v_sub_f32_e32 v131, v248, v250
	v_sub_f32_e32 v130, v232, v247
	;; [unrolled: 1-line block ×3, first 2 shown]
	v_fmac_f32_e32 v4, 0xbf737871, v5
	v_fmac_f32_e32 v144, 0x3f167918, v131
	v_add_f32_e32 v130, v130, v143
	v_fmac_f32_e32 v4, 0xbf167918, v131
	v_fmac_f32_e32 v144, 0x3e9e377a, v130
	;; [unrolled: 1-line block ×3, first 2 shown]
	v_add_f32_e32 v130, v232, v251
	v_fma_f32 v128, -0.5, v130, v128
	v_mov_b32_e32 v130, v128
	v_fmac_f32_e32 v130, 0xbf737871, v131
	v_fmac_f32_e32 v128, 0x3f737871, v131
	;; [unrolled: 1-line block ×4, first 2 shown]
	v_add_f32_e32 v5, v129, v233
	v_sub_f32_e32 v143, v247, v232
	v_sub_f32_e32 v145, v249, v251
	v_add_f32_e32 v5, v5, v248
	v_add_f32_e32 v143, v143, v145
	;; [unrolled: 1-line block ×3, first 2 shown]
	v_fmac_f32_e32 v130, 0x3e9e377a, v143
	v_fmac_f32_e32 v128, 0x3e9e377a, v143
	v_add_f32_e32 v143, v5, v252
	v_add_f32_e32 v5, v248, v250
	v_fma_f32 v5, -0.5, v5, v129
	v_sub_f32_e32 v148, v232, v251
	v_mov_b32_e32 v145, v5
	v_fmac_f32_e32 v145, 0xbf737871, v148
	v_sub_f32_e32 v149, v247, v249
	v_sub_f32_e32 v131, v233, v248
	;; [unrolled: 1-line block ×3, first 2 shown]
	v_fmac_f32_e32 v5, 0x3f737871, v148
	v_fmac_f32_e32 v145, 0xbf167918, v149
	v_add_f32_e32 v131, v131, v157
	v_fmac_f32_e32 v5, 0x3f167918, v149
	v_fmac_f32_e32 v145, 0x3e9e377a, v131
	;; [unrolled: 1-line block ×3, first 2 shown]
	v_add_f32_e32 v131, v233, v252
	v_fmac_f32_e32 v129, -0.5, v131
	v_mov_b32_e32 v131, v129
	v_fmac_f32_e32 v131, 0x3f737871, v149
	v_sub_f32_e32 v157, v248, v233
	v_sub_f32_e32 v160, v250, v252
	v_fmac_f32_e32 v131, 0xbf167918, v148
	v_add_f32_e32 v157, v157, v160
	v_fmac_f32_e32 v129, 0xbf737871, v149
	v_fmac_f32_e32 v131, 0x3e9e377a, v157
	;; [unrolled: 1-line block ×3, first 2 shown]
	ds_write_b64 v228, v[150:151] offset:2200
	ds_write_b64 v228, v[237:238] offset:4400
	;; [unrolled: 1-line block ×4, first 2 shown]
	ds_write2_b64 v228, v[140:141], v[174:175] offset1:55
	ds_write2_b64 v153, v[243:244], v[164:165] offset0:74 offset1:129
	ds_write2_b64 v155, v[245:246], v[171:172] offset0:93 offset1:148
	ds_write2_b64 v154, v[138:139], v[132:133] offset0:112 offset1:167
	ds_write2_b64 v166, v[239:240], v[161:162] offset0:131 offset1:186
	ds_write2_b64 v228, v[158:159], v[169:170] offset0:110 offset1:165
	ds_write_b64 v228, v[142:143] offset:1760
	ds_write2_b64 v153, v[167:168], v[144:145] offset0:184 offset1:239
	v_add_u32_e32 v146, 0x1400, v228
	v_add_u32_e32 v174, 0x2400, v228
	v_add_co_u32_e64 v136, s[0:1], s2, v228
	v_mov_b32_e32 v132, s3
	v_fmac_f32_e32 v129, 0x3e9e377a, v157
	ds_write2_b64 v146, v[176:177], v[130:131] offset0:75 offset1:130
	ds_write2_b64 v156, v[134:135], v[128:129] offset0:94 offset1:149
	;; [unrolled: 1-line block ×3, first 2 shown]
	s_waitcnt lgkmcnt(0)
	; wave barrier
	s_waitcnt lgkmcnt(0)
	v_addc_co_u32_e64 v137, s[0:1], 0, v132, s[0:1]
	global_load_dwordx2 v[132:133], v228, s[2:3]
	ds_read2_b64 v[141:144], v228 offset1:55
	v_add_co_u32_e64 v138, s[0:1], s13, v136
	v_addc_co_u32_e64 v139, s[0:1], 0, v137, s[0:1]
	v_add_co_u32_e64 v140, s[0:1], s12, v136
	s_waitcnt vmcnt(0) lgkmcnt(0)
	v_mul_f32_e32 v134, v142, v133
	v_mul_f32_e32 v135, v141, v133
	v_fma_f32 v134, v141, v132, -v134
	v_fmac_f32_e32 v135, v142, v132
	global_load_dwordx2 v[132:133], v228, s[2:3] offset:1000
	ds_write_b64 v228, v[134:135]
	ds_read2_b64 v[147:150], v228 offset0:125 offset1:180
	ds_read2_b64 v[157:160], v152 offset0:122 offset1:177
	;; [unrolled: 1-line block ×3, first 2 shown]
	v_add_u32_e32 v142, 0xc00, v228
	ds_read2_b64 v[167:170], v142 offset0:116 offset1:171
	ds_read2_b64 v[240:243], v155 offset0:113 offset1:168
	;; [unrolled: 1-line block ×5, first 2 shown]
	v_addc_co_u32_e64 v141, s[0:1], 0, v137, s[0:1]
	s_waitcnt vmcnt(0) lgkmcnt(7)
	v_mul_f32_e32 v134, v148, v133
	v_mul_f32_e32 v172, v147, v133
	v_fma_f32 v171, v147, v132, -v134
	v_fmac_f32_e32 v172, v148, v132
	global_load_dwordx2 v[132:133], v228, s[2:3] offset:2000
	s_waitcnt vmcnt(0) lgkmcnt(6)
	v_mul_f32_e32 v134, v158, v133
	v_mul_f32_e32 v148, v157, v133
	v_fma_f32 v147, v157, v132, -v134
	v_fmac_f32_e32 v148, v158, v132
	global_load_dwordx2 v[132:133], v228, s[2:3] offset:3000
	;; [unrolled: 6-line block ×3, first 2 shown]
	s_waitcnt vmcnt(0) lgkmcnt(4)
	v_mul_f32_e32 v134, v168, v133
	v_mul_f32_e32 v162, v167, v133
	v_fma_f32 v161, v167, v132, -v134
	v_fmac_f32_e32 v162, v168, v132
	global_load_dwordx2 v[132:133], v[138:139], off offset:904
	s_waitcnt vmcnt(0) lgkmcnt(3)
	v_mul_f32_e32 v134, v241, v133
	v_mul_f32_e32 v168, v240, v133
	v_fma_f32 v167, v240, v132, -v134
	v_fmac_f32_e32 v168, v241, v132
	global_load_dwordx2 v[132:133], v[138:139], off offset:1904
	ds_read2_b64 v[237:240], v166 offset0:101 offset1:156
	s_waitcnt vmcnt(0) lgkmcnt(3)
	v_mul_f32_e32 v134, v245, v133
	v_mul_f32_e32 v176, v244, v133
	v_fma_f32 v175, v244, v132, -v134
	v_fmac_f32_e32 v176, v245, v132
	global_load_dwordx2 v[132:133], v[138:139], off offset:2904
	s_waitcnt vmcnt(0) lgkmcnt(2)
	v_mul_f32_e32 v134, v249, v133
	v_mul_f32_e32 v245, v248, v133
	v_fma_f32 v244, v248, v132, -v134
	v_fmac_f32_e32 v245, v249, v132
	global_load_dwordx2 v[132:133], v[138:139], off offset:3904
	;; [unrolled: 6-line block ×4, first 2 shown]
	ds_read2_b64 v[132:135], v174 offset0:98 offset1:153
	s_waitcnt vmcnt(0) lgkmcnt(0)
	v_mul_f32_e32 v145, v133, v238
	v_mul_f32_e32 v233, v132, v238
	v_fma_f32 v232, v132, v237, -v145
	v_fmac_f32_e32 v233, v133, v237
	global_load_dwordx2 v[132:133], v228, s[2:3] offset:440
	s_waitcnt vmcnt(0)
	v_mul_f32_e32 v145, v144, v133
	v_mul_f32_e32 v238, v143, v133
	v_fma_f32 v237, v143, v132, -v145
	v_fmac_f32_e32 v238, v144, v132
	global_load_dwordx2 v[132:133], v228, s[2:3] offset:1440
	ds_write2_b64 v228, v[237:238], v[171:172] offset0:55 offset1:125
	s_waitcnt vmcnt(0)
	v_mul_f32_e32 v143, v150, v133
	v_mul_f32_e32 v144, v149, v133
	v_fma_f32 v143, v149, v132, -v143
	v_fmac_f32_e32 v144, v150, v132
	global_load_dwordx2 v[132:133], v228, s[2:3] offset:2440
	ds_write2_b64 v228, v[143:144], v[147:148] offset0:180 offset1:250
	;; [unrolled: 7-line block ×3, first 2 shown]
	s_waitcnt vmcnt(0)
	v_mul_f32_e32 v143, v164, v133
	v_mul_f32_e32 v144, v163, v133
	v_fma_f32 v143, v163, v132, -v143
	v_fmac_f32_e32 v144, v164, v132
	global_load_dwordx2 v[132:133], v[138:139], off offset:344
	ds_write2_b64 v153, v[143:144], v[161:162] offset0:174 offset1:244
	s_waitcnt vmcnt(0)
	v_mul_f32_e32 v143, v170, v133
	v_mul_f32_e32 v144, v169, v133
	v_fma_f32 v143, v169, v132, -v143
	v_fmac_f32_e32 v144, v170, v132
	global_load_dwordx2 v[132:133], v[138:139], off offset:1344
	ds_write2_b64 v155, v[143:144], v[167:168] offset0:43 offset1:113
	;; [unrolled: 7-line block ×7, first 2 shown]
	s_waitcnt vmcnt(0)
	v_mul_f32_e32 v143, v135, v133
	v_mul_f32_e32 v144, v134, v133
	v_fma_f32 v143, v134, v132, -v143
	v_fmac_f32_e32 v144, v135, v132
	ds_write_b64 v228, v[143:144] offset:10440
	s_and_saveexec_b64 s[0:1], vcc
	s_cbranch_execz .LBB0_9
; %bb.8:
	v_mov_b32_e32 v132, 0x2a80
	global_load_dwordx2 v[143:144], v[136:137], off offset:880
	global_load_dwordx2 v[147:148], v[136:137], off offset:1880
	;; [unrolled: 1-line block ×9, first 2 shown]
	v_lshl_or_b32 v132, v227, 3, v132
	global_load_dwordx2 v[140:141], v[140:141], off offset:1688
	s_nop 0
	global_load_dwordx2 v[237:238], v132, s[2:3]
	ds_read2_b64 v[132:135], v228 offset0:110 offset1:235
	s_waitcnt vmcnt(10) lgkmcnt(0)
	v_mul_f32_e32 v136, v133, v144
	v_mul_f32_e32 v137, v132, v144
	s_waitcnt vmcnt(9)
	v_mul_f32_e32 v138, v135, v148
	v_mul_f32_e32 v139, v134, v148
	v_fma_f32 v136, v132, v143, -v136
	v_fmac_f32_e32 v137, v133, v143
	v_fma_f32 v138, v134, v147, -v138
	v_fmac_f32_e32 v139, v135, v147
	ds_write2_b64 v228, v[136:137], v[138:139] offset0:110 offset1:235
	ds_read2_b64 v[132:135], v153 offset0:104 offset1:229
	ds_read2_b64 v[136:139], v155 offset0:98 offset1:223
	;; [unrolled: 1-line block ×4, first 2 shown]
	ds_read_b64 v[143:144], v228 offset:10880
	s_waitcnt vmcnt(8) lgkmcnt(4)
	v_mul_f32_e32 v145, v133, v162
	v_mul_f32_e32 v165, v132, v162
	s_waitcnt vmcnt(7)
	v_mul_f32_e32 v239, v135, v164
	v_mul_f32_e32 v162, v134, v164
	s_waitcnt vmcnt(6) lgkmcnt(3)
	v_mul_f32_e32 v240, v137, v168
	v_mul_f32_e32 v173, v136, v168
	s_waitcnt vmcnt(5)
	v_mul_f32_e32 v241, v139, v170
	v_mul_f32_e32 v168, v138, v170
	;; [unrolled: 6-line block ×4, first 2 shown]
	s_waitcnt vmcnt(0) lgkmcnt(0)
	v_mul_f32_e32 v246, v144, v238
	v_mul_f32_e32 v141, v143, v238
	v_fma_f32 v164, v132, v161, -v145
	v_fmac_f32_e32 v165, v133, v161
	v_fma_f32 v161, v134, v163, -v239
	v_fmac_f32_e32 v162, v135, v163
	v_fma_f32 v172, v136, v167, -v240
	v_fmac_f32_e32 v173, v137, v167
	v_fma_f32 v167, v138, v169, -v241
	v_fmac_f32_e32 v168, v139, v169
	v_fma_f32 v169, v147, v171, -v242
	v_fmac_f32_e32 v170, v148, v171
	v_fma_f32 v176, v149, v175, -v243
	v_fmac_f32_e32 v177, v150, v175
	v_fma_f32 v150, v157, v232, -v244
	v_fmac_f32_e32 v151, v158, v232
	v_fma_f32 v232, v159, v140, -v245
	v_fmac_f32_e32 v233, v160, v140
	v_fma_f32 v140, v143, v237, -v246
	v_fmac_f32_e32 v141, v144, v237
	ds_write2_b64 v153, v[164:165], v[161:162] offset0:104 offset1:229
	ds_write2_b64 v155, v[172:173], v[167:168] offset0:98 offset1:223
	;; [unrolled: 1-line block ×4, first 2 shown]
	ds_write_b64 v228, v[140:141] offset:10880
.LBB0_9:
	s_or_b64 exec, exec, s[0:1]
	s_waitcnt lgkmcnt(0)
	; wave barrier
	s_waitcnt lgkmcnt(0)
	ds_read2_b64 v[158:161], v228 offset1:55
	ds_read2_b64 v[170:173], v228 offset0:125 offset1:180
	ds_read2_b64 v[162:165], v152 offset0:122 offset1:177
	ds_read2_b64 v[150:153], v153 offset0:119 offset1:174
	ds_read2_b64 v[142:145], v142 offset0:116 offset1:171
	ds_read2_b64 v[134:137], v155 offset0:113 offset1:168
	ds_read2_b64 v[138:141], v146 offset0:110 offset1:165
	ds_read2_b64 v[146:149], v154 offset0:107 offset1:162
	ds_read2_b64 v[154:157], v156 offset0:104 offset1:159
	ds_read2_b64 v[166:169], v166 offset0:101 offset1:156
	ds_read2_b64 v[174:177], v174 offset0:98 offset1:153
	s_and_saveexec_b64 s[0:1], vcc
	s_cbranch_execz .LBB0_11
; %bb.10:
	v_add_u32_e32 v0, 0x800, v228
	ds_read2_b64 v[4:7], v0 offset0:104 offset1:229
	v_add_u32_e32 v0, 0x1000, v228
	ds_read2_b64 v[8:11], v0 offset0:98 offset1:223
	;; [unrolled: 2-line block ×3, first 2 shown]
	ds_read2_b64 v[12:15], v0 offset0:92 offset1:217
	v_add_u32_e32 v0, 0x2000, v228
	ds_read2_b64 v[0:3], v0 offset0:86 offset1:211
	ds_read_b64 v[225:226], v228 offset:10880
	s_waitcnt lgkmcnt(3)
	v_mov_b32_e32 v128, v132
	v_mov_b32_e32 v129, v133
.LBB0_11:
	s_or_b64 exec, exec, s[0:1]
	s_waitcnt lgkmcnt(9)
	v_add_f32_e32 v132, v158, v170
	v_add_f32_e32 v133, v159, v171
	s_waitcnt lgkmcnt(8)
	v_add_f32_e32 v132, v132, v162
	v_add_f32_e32 v133, v133, v163
	;; [unrolled: 3-line block ×8, first 2 shown]
	s_waitcnt lgkmcnt(1)
	v_add_f32_e32 v132, v132, v166
	s_waitcnt lgkmcnt(0)
	v_add_f32_e32 v233, v175, v171
	v_sub_f32_e32 v171, v171, v175
	v_add_f32_e32 v133, v133, v167
	v_add_f32_e32 v132, v132, v174
	;; [unrolled: 1-line block ×3, first 2 shown]
	v_sub_f32_e32 v170, v170, v174
	v_mul_f32_e32 v174, 0xbf0a6770, v171
	v_mul_f32_e32 v239, 0xbf68dda4, v171
	;; [unrolled: 1-line block ×5, first 2 shown]
	v_add_f32_e32 v133, v133, v175
	s_mov_b32 s2, 0x3f575c64
	v_mov_b32_e32 v175, v174
	s_mov_b32 s3, 0x3ed4b147
	v_mov_b32_e32 v240, v239
	;; [unrolled: 2-line block ×5, first 2 shown]
	v_fmac_f32_e32 v175, 0x3f575c64, v232
	v_mul_f32_e32 v237, 0x3f575c64, v233
	v_fma_f32 v174, v232, s2, -v174
	v_fmac_f32_e32 v240, 0x3ed4b147, v232
	v_mul_f32_e32 v241, 0x3ed4b147, v233
	v_fma_f32 v239, v232, s3, -v239
	;; [unrolled: 3-line block ×5, first 2 shown]
	v_add_f32_e32 v175, v158, v175
	v_mov_b32_e32 v238, v237
	v_add_f32_e32 v174, v158, v174
	v_add_f32_e32 v240, v158, v240
	v_mov_b32_e32 v242, v241
	v_add_f32_e32 v239, v158, v239
	;; [unrolled: 3-line block ×5, first 2 shown]
	v_add_f32_e32 v171, v167, v163
	v_sub_f32_e32 v163, v163, v167
	v_fmac_f32_e32 v238, 0x3f0a6770, v170
	v_fmac_f32_e32 v237, 0xbf0a6770, v170
	;; [unrolled: 1-line block ×10, first 2 shown]
	v_add_f32_e32 v170, v166, v162
	v_sub_f32_e32 v162, v162, v166
	v_mul_f32_e32 v166, 0xbf68dda4, v163
	v_mov_b32_e32 v167, v166
	v_fmac_f32_e32 v167, 0x3ed4b147, v170
	v_add_f32_e32 v167, v167, v175
	v_mul_f32_e32 v175, 0x3ed4b147, v171
	v_add_f32_e32 v237, v159, v237
	v_mov_b32_e32 v232, v175
	v_fma_f32 v166, v170, s3, -v166
	v_fmac_f32_e32 v175, 0xbf68dda4, v162
	v_add_f32_e32 v166, v166, v174
	v_add_f32_e32 v174, v175, v237
	v_mul_f32_e32 v175, 0xbf4178ce, v163
	v_add_f32_e32 v238, v159, v238
	v_add_f32_e32 v242, v159, v242
	v_add_f32_e32 v241, v159, v241
	v_add_f32_e32 v246, v159, v246
	v_add_f32_e32 v245, v159, v245
	v_add_f32_e32 v250, v159, v250
	v_add_f32_e32 v249, v159, v249
	v_add_f32_e32 v252, v159, v252
	v_add_f32_e32 v159, v159, v233
	v_mov_b32_e32 v233, v175
	v_fma_f32 v175, v170, s5, -v175
	v_fmac_f32_e32 v232, 0x3f68dda4, v162
	v_fmac_f32_e32 v233, 0xbf27a4f4, v170
	v_mul_f32_e32 v237, 0xbf27a4f4, v171
	v_add_f32_e32 v175, v175, v239
	v_mul_f32_e32 v239, 0x3e903f40, v163
	v_add_f32_e32 v232, v232, v238
	v_add_f32_e32 v233, v233, v240
	v_mov_b32_e32 v238, v237
	v_fmac_f32_e32 v237, 0xbf4178ce, v162
	v_mov_b32_e32 v240, v239
	v_fma_f32 v239, v170, s12, -v239
	v_fmac_f32_e32 v238, 0x3f4178ce, v162
	v_add_f32_e32 v237, v237, v241
	v_fmac_f32_e32 v240, 0xbf75a155, v170
	v_mul_f32_e32 v241, 0xbf75a155, v171
	v_add_f32_e32 v239, v239, v243
	v_mul_f32_e32 v243, 0x3f7d64f0, v163
	v_add_f32_e32 v238, v238, v242
	v_add_f32_e32 v240, v240, v244
	v_mov_b32_e32 v242, v241
	v_fmac_f32_e32 v241, 0x3e903f40, v162
	v_mov_b32_e32 v244, v243
	v_fma_f32 v243, v170, s4, -v243
	v_mul_f32_e32 v163, 0x3f0a6770, v163
	v_fmac_f32_e32 v242, 0xbe903f40, v162
	v_add_f32_e32 v241, v241, v245
	v_fmac_f32_e32 v244, 0xbe11bafb, v170
	v_mul_f32_e32 v245, 0xbe11bafb, v171
	v_add_f32_e32 v243, v243, v247
	v_mov_b32_e32 v247, v163
	v_mul_f32_e32 v171, 0x3f575c64, v171
	v_fma_f32 v163, v170, s2, -v163
	v_add_f32_e32 v242, v242, v246
	v_add_f32_e32 v244, v244, v248
	v_mov_b32_e32 v246, v245
	v_mov_b32_e32 v248, v171
	v_add_f32_e32 v158, v163, v158
	v_add_f32_e32 v163, v155, v151
	v_sub_f32_e32 v151, v151, v155
	v_fmac_f32_e32 v246, 0xbf7d64f0, v162
	v_fmac_f32_e32 v245, 0x3f7d64f0, v162
	;; [unrolled: 1-line block ×4, first 2 shown]
	v_add_f32_e32 v162, v154, v150
	v_sub_f32_e32 v150, v150, v154
	v_mul_f32_e32 v154, 0xbf7d64f0, v151
	v_mov_b32_e32 v155, v154
	v_fmac_f32_e32 v155, 0xbe11bafb, v162
	v_add_f32_e32 v155, v155, v167
	v_mul_f32_e32 v167, 0xbe11bafb, v163
	v_fmac_f32_e32 v247, 0x3f575c64, v170
	v_mov_b32_e32 v170, v167
	v_fma_f32 v154, v162, s4, -v154
	v_fmac_f32_e32 v167, 0xbf7d64f0, v150
	v_add_f32_e32 v154, v154, v166
	v_add_f32_e32 v166, v167, v174
	v_mul_f32_e32 v167, 0x3e903f40, v151
	v_add_f32_e32 v159, v171, v159
	v_mov_b32_e32 v171, v167
	v_fma_f32 v167, v162, s12, -v167
	v_fmac_f32_e32 v170, 0x3f7d64f0, v150
	v_fmac_f32_e32 v171, 0xbf75a155, v162
	v_mul_f32_e32 v174, 0xbf75a155, v163
	v_add_f32_e32 v167, v167, v175
	v_mul_f32_e32 v175, 0x3f68dda4, v151
	v_add_f32_e32 v170, v170, v232
	v_add_f32_e32 v171, v171, v233
	v_mov_b32_e32 v232, v174
	v_fmac_f32_e32 v174, 0x3e903f40, v150
	v_mov_b32_e32 v233, v175
	v_fma_f32 v175, v162, s3, -v175
	v_fmac_f32_e32 v232, 0xbe903f40, v150
	v_add_f32_e32 v174, v174, v237
	v_fmac_f32_e32 v233, 0x3ed4b147, v162
	v_mul_f32_e32 v237, 0x3ed4b147, v163
	v_add_f32_e32 v175, v175, v239
	v_mul_f32_e32 v239, 0xbf0a6770, v151
	v_add_f32_e32 v232, v232, v238
	v_add_f32_e32 v233, v233, v240
	v_mov_b32_e32 v238, v237
	v_fmac_f32_e32 v237, 0x3f68dda4, v150
	v_mov_b32_e32 v240, v239
	v_fmac_f32_e32 v238, 0xbf68dda4, v150
	v_add_f32_e32 v237, v237, v241
	v_fmac_f32_e32 v240, 0x3f575c64, v162
	v_mul_f32_e32 v241, 0x3f575c64, v163
	v_mul_f32_e32 v163, 0xbf27a4f4, v163
	v_add_f32_e32 v238, v238, v242
	v_add_f32_e32 v240, v240, v244
	v_mov_b32_e32 v242, v241
	v_fma_f32 v239, v162, s2, -v239
	v_mul_f32_e32 v151, 0xbf4178ce, v151
	v_mov_b32_e32 v244, v163
	v_fmac_f32_e32 v163, 0xbf4178ce, v150
	v_fmac_f32_e32 v242, 0x3f0a6770, v150
	v_add_f32_e32 v239, v239, v243
	v_fmac_f32_e32 v241, 0xbf0a6770, v150
	v_mov_b32_e32 v243, v151
	v_fmac_f32_e32 v244, 0x3f4178ce, v150
	v_fma_f32 v151, v162, s5, -v151
	v_add_f32_e32 v150, v163, v159
	v_add_f32_e32 v159, v147, v143
	v_sub_f32_e32 v143, v143, v147
	v_add_f32_e32 v151, v151, v158
	v_add_f32_e32 v158, v146, v142
	v_sub_f32_e32 v142, v142, v146
	v_mul_f32_e32 v146, 0xbf4178ce, v143
	v_mov_b32_e32 v147, v146
	v_fmac_f32_e32 v147, 0xbf27a4f4, v158
	v_add_f32_e32 v147, v147, v155
	v_mul_f32_e32 v155, 0xbf27a4f4, v159
	v_fmac_f32_e32 v243, 0xbf27a4f4, v162
	v_mov_b32_e32 v162, v155
	v_fma_f32 v146, v158, s5, -v146
	v_fmac_f32_e32 v155, 0xbf4178ce, v142
	v_add_f32_e32 v146, v146, v154
	v_add_f32_e32 v154, v155, v166
	v_mul_f32_e32 v155, 0x3f7d64f0, v143
	v_mov_b32_e32 v163, v155
	v_fma_f32 v155, v158, s4, -v155
	v_fmac_f32_e32 v162, 0x3f4178ce, v142
	v_fmac_f32_e32 v163, 0xbe11bafb, v158
	v_mul_f32_e32 v166, 0xbe11bafb, v159
	v_add_f32_e32 v155, v155, v167
	v_mul_f32_e32 v167, 0xbf0a6770, v143
	v_add_f32_e32 v162, v162, v170
	v_add_f32_e32 v163, v163, v171
	v_mov_b32_e32 v170, v166
	v_fmac_f32_e32 v166, 0x3f7d64f0, v142
	v_mov_b32_e32 v171, v167
	v_fma_f32 v167, v158, s2, -v167
	v_fmac_f32_e32 v170, 0xbf7d64f0, v142
	v_add_f32_e32 v166, v166, v174
	v_fmac_f32_e32 v171, 0x3f575c64, v158
	v_mul_f32_e32 v174, 0x3f575c64, v159
	v_add_f32_e32 v167, v167, v175
	v_mul_f32_e32 v175, 0xbe903f40, v143
	v_add_f32_e32 v170, v170, v232
	v_add_f32_e32 v171, v171, v233
	v_mov_b32_e32 v232, v174
	v_fmac_f32_e32 v174, 0xbf0a6770, v142
	v_mov_b32_e32 v233, v175
	v_fma_f32 v175, v158, s12, -v175
	v_mul_f32_e32 v143, 0x3f68dda4, v143
	v_add_f32_e32 v246, v246, v250
	v_add_f32_e32 v247, v247, v251
	;; [unrolled: 1-line block ×3, first 2 shown]
	v_fmac_f32_e32 v233, 0xbf75a155, v158
	v_mul_f32_e32 v237, 0xbf75a155, v159
	v_add_f32_e32 v175, v175, v239
	v_mov_b32_e32 v239, v143
	v_mul_f32_e32 v159, 0x3ed4b147, v159
	v_add_f32_e32 v245, v245, v249
	v_add_f32_e32 v248, v248, v252
	;; [unrolled: 1-line block ×5, first 2 shown]
	v_fmac_f32_e32 v239, 0x3ed4b147, v158
	v_mov_b32_e32 v240, v159
	v_sub_f32_e32 v246, v135, v139
	v_add_f32_e32 v241, v241, v245
	v_add_f32_e32 v244, v244, v248
	;; [unrolled: 1-line block ×3, first 2 shown]
	v_fmac_f32_e32 v240, 0xbf68dda4, v142
	v_add_f32_e32 v243, v138, v134
	v_sub_f32_e32 v245, v134, v138
	v_mul_f32_e32 v138, 0xbe903f40, v246
	v_fmac_f32_e32 v232, 0x3f0a6770, v142
	v_add_f32_e32 v240, v240, v244
	v_add_f32_e32 v244, v139, v135
	v_mov_b32_e32 v134, v138
	v_fma_f32 v138, v243, s12, -v138
	v_add_f32_e32 v232, v232, v238
	v_mov_b32_e32 v238, v237
	v_mul_f32_e32 v139, 0xbf75a155, v244
	v_add_f32_e32 v138, v138, v146
	v_mul_f32_e32 v146, 0x3f0a6770, v246
	v_fmac_f32_e32 v238, 0x3e903f40, v142
	v_fmac_f32_e32 v237, 0xbe903f40, v142
	v_fmac_f32_e32 v159, 0x3f68dda4, v142
	v_mov_b32_e32 v135, v139
	v_mov_b32_e32 v142, v146
	v_fma_f32 v146, v243, s2, -v146
	v_fma_f32 v143, v158, s3, -v143
	v_fmac_f32_e32 v135, 0x3e903f40, v245
	v_add_f32_e32 v146, v146, v155
	v_mul_f32_e32 v155, 0xbf27a4f4, v244
	v_add_f32_e32 v237, v237, v241
	v_add_f32_e32 v241, v143, v151
	;; [unrolled: 1-line block ×3, first 2 shown]
	v_mov_b32_e32 v151, v155
	v_fmac_f32_e32 v155, 0xbf4178ce, v245
	v_mul_f32_e32 v162, 0x3f68dda4, v246
	v_add_f32_e32 v155, v155, v174
	v_mov_b32_e32 v158, v162
	v_fma_f32 v162, v243, s3, -v162
	v_add_f32_e32 v174, v160, v172
	v_add_f32_e32 v162, v162, v175
	;; [unrolled: 1-line block ×4, first 2 shown]
	v_fmac_f32_e32 v134, 0xbf75a155, v243
	v_add_f32_e32 v175, v175, v165
	v_add_f32_e32 v174, v174, v152
	;; [unrolled: 1-line block ×3, first 2 shown]
	v_fmac_f32_e32 v139, 0xbe903f40, v245
	v_mul_f32_e32 v147, 0x3f575c64, v244
	v_add_f32_e32 v175, v175, v153
	v_add_f32_e32 v174, v174, v144
	;; [unrolled: 1-line block ×3, first 2 shown]
	v_mov_b32_e32 v143, v147
	v_mul_f32_e32 v154, 0xbf4178ce, v246
	v_add_f32_e32 v175, v175, v145
	v_add_f32_e32 v174, v174, v136
	;; [unrolled: 1-line block ×4, first 2 shown]
	v_fmac_f32_e32 v143, 0xbf0a6770, v245
	v_mov_b32_e32 v150, v154
	v_add_f32_e32 v175, v175, v137
	v_add_f32_e32 v174, v174, v140
	;; [unrolled: 1-line block ×3, first 2 shown]
	v_fmac_f32_e32 v147, 0x3f0a6770, v245
	v_fmac_f32_e32 v150, 0xbf27a4f4, v243
	v_mul_f32_e32 v170, 0xbf7d64f0, v246
	v_add_f32_e32 v175, v175, v141
	v_add_f32_e32 v174, v174, v148
	;; [unrolled: 1-line block ×4, first 2 shown]
	v_fma_f32 v154, v243, s5, -v154
	v_fmac_f32_e32 v158, 0x3ed4b147, v243
	v_mov_b32_e32 v166, v170
	v_mul_f32_e32 v171, 0xbe11bafb, v244
	v_add_f32_e32 v175, v175, v149
	v_add_f32_e32 v174, v174, v156
	v_fmac_f32_e32 v142, 0x3f575c64, v243
	v_fmac_f32_e32 v151, 0x3f4178ce, v245
	v_add_f32_e32 v154, v154, v167
	v_add_f32_e32 v158, v158, v233
	v_fmac_f32_e32 v166, 0xbe11bafb, v243
	v_mov_b32_e32 v167, v171
	v_add_f32_e32 v175, v175, v157
	v_add_f32_e32 v174, v174, v168
	;; [unrolled: 1-line block ×3, first 2 shown]
	v_sub_f32_e32 v173, v173, v177
	v_add_f32_e32 v142, v142, v163
	v_add_f32_e32 v151, v151, v232
	v_mul_f32_e32 v163, 0x3ed4b147, v244
	v_add_f32_e32 v166, v166, v239
	v_fmac_f32_e32 v167, 0x3f7d64f0, v245
	v_fma_f32 v170, v243, s4, -v170
	v_add_f32_e32 v175, v175, v169
	v_add_f32_e32 v174, v174, v176
	;; [unrolled: 1-line block ×3, first 2 shown]
	v_sub_f32_e32 v172, v172, v176
	v_mul_f32_e32 v176, 0xbf0a6770, v173
	v_mul_f32_e32 v239, 0xbf68dda4, v173
	v_mul_f32_e32 v243, 0xbf7d64f0, v173
	v_mul_f32_e32 v247, 0xbf4178ce, v173
	v_mul_f32_e32 v173, 0xbe903f40, v173
	v_mov_b32_e32 v159, v163
	v_fmac_f32_e32 v163, 0x3f68dda4, v245
	v_add_f32_e32 v167, v167, v240
	v_add_f32_e32 v175, v175, v177
	v_mov_b32_e32 v177, v176
	v_mov_b32_e32 v240, v239
	;; [unrolled: 1-line block ×5, first 2 shown]
	v_fmac_f32_e32 v159, 0xbf68dda4, v245
	v_add_f32_e32 v163, v163, v237
	v_add_f32_e32 v170, v170, v241
	v_fmac_f32_e32 v171, 0xbf7d64f0, v245
	v_fmac_f32_e32 v177, 0x3f575c64, v232
	v_mul_f32_e32 v237, 0x3f575c64, v233
	v_fma_f32 v176, v232, s2, -v176
	v_fmac_f32_e32 v240, 0x3ed4b147, v232
	v_mul_f32_e32 v241, 0x3ed4b147, v233
	v_fma_f32 v239, v232, s3, -v239
	v_fmac_f32_e32 v244, 0xbe11bafb, v232
	v_mul_f32_e32 v245, 0xbe11bafb, v233
	v_fma_f32 v243, v232, s4, -v243
	v_fmac_f32_e32 v248, 0xbf27a4f4, v232
	v_mul_f32_e32 v249, 0xbf27a4f4, v233
	v_fma_f32 v247, v232, s5, -v247
	v_fmac_f32_e32 v251, 0xbf75a155, v232
	v_mul_f32_e32 v233, 0xbf75a155, v233
	v_fma_f32 v173, v232, s12, -v173
	v_add_f32_e32 v159, v159, v238
	v_add_f32_e32 v171, v171, v242
	;; [unrolled: 1-line block ×3, first 2 shown]
	v_mov_b32_e32 v238, v237
	v_add_f32_e32 v176, v160, v176
	v_add_f32_e32 v240, v160, v240
	v_mov_b32_e32 v242, v241
	v_add_f32_e32 v239, v160, v239
	v_add_f32_e32 v244, v160, v244
	;; [unrolled: 3-line block ×5, first 2 shown]
	v_sub_f32_e32 v165, v165, v169
	v_fmac_f32_e32 v238, 0x3f0a6770, v172
	v_fmac_f32_e32 v237, 0xbf0a6770, v172
	;; [unrolled: 1-line block ×10, first 2 shown]
	v_add_f32_e32 v172, v168, v164
	v_sub_f32_e32 v164, v164, v168
	v_mul_f32_e32 v168, 0xbf68dda4, v165
	v_mov_b32_e32 v169, v168
	v_fmac_f32_e32 v169, 0x3ed4b147, v172
	v_add_f32_e32 v169, v169, v177
	v_mul_f32_e32 v177, 0x3ed4b147, v173
	v_add_f32_e32 v237, v161, v237
	v_mov_b32_e32 v232, v177
	v_fma_f32 v168, v172, s3, -v168
	v_fmac_f32_e32 v177, 0xbf68dda4, v164
	v_add_f32_e32 v168, v168, v176
	v_add_f32_e32 v176, v177, v237
	v_mul_f32_e32 v177, 0xbf4178ce, v165
	v_add_f32_e32 v238, v161, v238
	v_add_f32_e32 v242, v161, v242
	;; [unrolled: 1-line block ×9, first 2 shown]
	v_mov_b32_e32 v233, v177
	v_fma_f32 v177, v172, s5, -v177
	v_fmac_f32_e32 v232, 0x3f68dda4, v164
	v_fmac_f32_e32 v233, 0xbf27a4f4, v172
	v_mul_f32_e32 v237, 0xbf27a4f4, v173
	v_add_f32_e32 v177, v177, v239
	v_mul_f32_e32 v239, 0x3e903f40, v165
	v_add_f32_e32 v232, v232, v238
	v_add_f32_e32 v233, v233, v240
	v_mov_b32_e32 v238, v237
	v_fmac_f32_e32 v237, 0xbf4178ce, v164
	v_mov_b32_e32 v240, v239
	v_fma_f32 v239, v172, s12, -v239
	v_fmac_f32_e32 v238, 0x3f4178ce, v164
	v_add_f32_e32 v237, v237, v241
	v_fmac_f32_e32 v240, 0xbf75a155, v172
	v_mul_f32_e32 v241, 0xbf75a155, v173
	v_add_f32_e32 v239, v239, v243
	v_mul_f32_e32 v243, 0x3f7d64f0, v165
	v_add_f32_e32 v238, v238, v242
	v_add_f32_e32 v240, v240, v244
	v_mov_b32_e32 v242, v241
	v_fmac_f32_e32 v241, 0x3e903f40, v164
	v_mov_b32_e32 v244, v243
	v_fma_f32 v243, v172, s4, -v243
	v_mul_f32_e32 v165, 0x3f0a6770, v165
	v_fmac_f32_e32 v242, 0xbe903f40, v164
	v_add_f32_e32 v241, v241, v245
	v_fmac_f32_e32 v244, 0xbe11bafb, v172
	v_mul_f32_e32 v245, 0xbe11bafb, v173
	v_add_f32_e32 v243, v243, v247
	v_mov_b32_e32 v247, v165
	v_mul_f32_e32 v173, 0x3f575c64, v173
	v_fma_f32 v165, v172, s2, -v165
	v_add_f32_e32 v242, v242, v246
	v_add_f32_e32 v244, v244, v248
	v_mov_b32_e32 v246, v245
	v_mov_b32_e32 v248, v173
	v_add_f32_e32 v160, v165, v160
	v_add_f32_e32 v165, v157, v153
	v_sub_f32_e32 v153, v153, v157
	v_fmac_f32_e32 v246, 0xbf7d64f0, v164
	v_fmac_f32_e32 v245, 0x3f7d64f0, v164
	;; [unrolled: 1-line block ×4, first 2 shown]
	v_add_f32_e32 v164, v156, v152
	v_sub_f32_e32 v152, v152, v156
	v_mul_f32_e32 v156, 0xbf7d64f0, v153
	v_mov_b32_e32 v157, v156
	v_fmac_f32_e32 v157, 0xbe11bafb, v164
	v_add_f32_e32 v157, v157, v169
	v_mul_f32_e32 v169, 0xbe11bafb, v165
	v_fmac_f32_e32 v247, 0x3f575c64, v172
	v_mov_b32_e32 v172, v169
	v_fma_f32 v156, v164, s4, -v156
	v_fmac_f32_e32 v169, 0xbf7d64f0, v152
	v_add_f32_e32 v156, v156, v168
	v_add_f32_e32 v168, v169, v176
	v_mul_f32_e32 v169, 0x3e903f40, v153
	v_add_f32_e32 v161, v173, v161
	v_mov_b32_e32 v173, v169
	v_fma_f32 v169, v164, s12, -v169
	v_fmac_f32_e32 v172, 0x3f7d64f0, v152
	v_fmac_f32_e32 v173, 0xbf75a155, v164
	v_mul_f32_e32 v176, 0xbf75a155, v165
	v_add_f32_e32 v169, v169, v177
	v_mul_f32_e32 v177, 0x3f68dda4, v153
	v_add_f32_e32 v172, v172, v232
	v_add_f32_e32 v173, v173, v233
	v_mov_b32_e32 v232, v176
	v_fmac_f32_e32 v176, 0x3e903f40, v152
	v_mov_b32_e32 v233, v177
	v_fma_f32 v177, v164, s3, -v177
	v_fmac_f32_e32 v232, 0xbe903f40, v152
	v_add_f32_e32 v176, v176, v237
	v_fmac_f32_e32 v233, 0x3ed4b147, v164
	v_mul_f32_e32 v237, 0x3ed4b147, v165
	v_add_f32_e32 v177, v177, v239
	v_mul_f32_e32 v239, 0xbf0a6770, v153
	v_add_f32_e32 v232, v232, v238
	v_add_f32_e32 v233, v233, v240
	v_mov_b32_e32 v238, v237
	v_fmac_f32_e32 v237, 0x3f68dda4, v152
	v_mov_b32_e32 v240, v239
	v_fmac_f32_e32 v238, 0xbf68dda4, v152
	v_add_f32_e32 v237, v237, v241
	v_fmac_f32_e32 v240, 0x3f575c64, v164
	v_mul_f32_e32 v241, 0x3f575c64, v165
	v_mul_f32_e32 v165, 0xbf27a4f4, v165
	v_add_f32_e32 v238, v238, v242
	v_add_f32_e32 v240, v240, v244
	v_mov_b32_e32 v242, v241
	v_fma_f32 v239, v164, s2, -v239
	v_mul_f32_e32 v153, 0xbf4178ce, v153
	v_mov_b32_e32 v244, v165
	v_fmac_f32_e32 v165, 0xbf4178ce, v152
	v_fmac_f32_e32 v242, 0x3f0a6770, v152
	v_add_f32_e32 v239, v239, v243
	v_fmac_f32_e32 v241, 0xbf0a6770, v152
	v_mov_b32_e32 v243, v153
	v_fmac_f32_e32 v244, 0x3f4178ce, v152
	v_fma_f32 v153, v164, s5, -v153
	v_add_f32_e32 v152, v165, v161
	v_add_f32_e32 v161, v149, v145
	v_sub_f32_e32 v145, v145, v149
	v_add_f32_e32 v153, v153, v160
	v_add_f32_e32 v160, v148, v144
	v_sub_f32_e32 v144, v144, v148
	v_mul_f32_e32 v148, 0xbf4178ce, v145
	v_mov_b32_e32 v149, v148
	v_fmac_f32_e32 v149, 0xbf27a4f4, v160
	v_add_f32_e32 v149, v149, v157
	v_mul_f32_e32 v157, 0xbf27a4f4, v161
	v_fmac_f32_e32 v243, 0xbf27a4f4, v164
	v_mov_b32_e32 v164, v157
	v_fma_f32 v148, v160, s5, -v148
	v_fmac_f32_e32 v157, 0xbf4178ce, v144
	v_add_f32_e32 v148, v148, v156
	v_add_f32_e32 v156, v157, v168
	v_mul_f32_e32 v157, 0x3f7d64f0, v145
	v_mov_b32_e32 v165, v157
	v_fma_f32 v157, v160, s4, -v157
	v_fmac_f32_e32 v164, 0x3f4178ce, v144
	v_fmac_f32_e32 v165, 0xbe11bafb, v160
	v_mul_f32_e32 v168, 0xbe11bafb, v161
	v_add_f32_e32 v157, v157, v169
	v_mul_f32_e32 v169, 0xbf0a6770, v145
	v_add_f32_e32 v164, v164, v172
	v_add_f32_e32 v165, v165, v173
	v_mov_b32_e32 v172, v168
	v_fmac_f32_e32 v168, 0x3f7d64f0, v144
	v_mov_b32_e32 v173, v169
	v_fma_f32 v169, v160, s2, -v169
	v_fmac_f32_e32 v172, 0xbf7d64f0, v144
	v_add_f32_e32 v168, v168, v176
	v_fmac_f32_e32 v173, 0x3f575c64, v160
	v_mul_f32_e32 v176, 0x3f575c64, v161
	v_add_f32_e32 v169, v169, v177
	v_mul_f32_e32 v177, 0xbe903f40, v145
	v_add_f32_e32 v172, v172, v232
	v_add_f32_e32 v173, v173, v233
	v_mov_b32_e32 v232, v176
	v_fmac_f32_e32 v176, 0xbf0a6770, v144
	v_mov_b32_e32 v233, v177
	v_add_f32_e32 v176, v176, v237
	v_fmac_f32_e32 v233, 0xbf75a155, v160
	v_mul_f32_e32 v237, 0xbf75a155, v161
	v_fma_f32 v177, v160, s12, -v177
	v_mul_f32_e32 v145, 0x3f68dda4, v145
	v_mul_f32_e32 v161, 0x3ed4b147, v161
	v_add_f32_e32 v246, v246, v250
	v_add_f32_e32 v247, v247, v251
	;; [unrolled: 1-line block ×5, first 2 shown]
	v_mov_b32_e32 v239, v145
	v_mov_b32_e32 v240, v161
	v_add_f32_e32 v245, v245, v249
	v_add_f32_e32 v242, v242, v246
	;; [unrolled: 1-line block ×4, first 2 shown]
	v_fmac_f32_e32 v239, 0x3ed4b147, v160
	v_fmac_f32_e32 v240, 0xbf68dda4, v144
	v_sub_f32_e32 v246, v137, v141
	v_add_f32_e32 v241, v241, v245
	v_add_f32_e32 v239, v239, v243
	;; [unrolled: 1-line block ×5, first 2 shown]
	v_sub_f32_e32 v245, v136, v140
	v_mul_f32_e32 v140, 0xbe903f40, v246
	v_fmac_f32_e32 v232, 0x3f0a6770, v144
	v_mov_b32_e32 v136, v140
	v_mul_f32_e32 v141, 0xbf75a155, v244
	v_add_f32_e32 v232, v232, v238
	v_mov_b32_e32 v238, v237
	v_fmac_f32_e32 v136, 0xbf75a155, v243
	v_mov_b32_e32 v137, v141
	v_fma_f32 v140, v243, s12, -v140
	v_fmac_f32_e32 v141, 0xbe903f40, v245
	v_fmac_f32_e32 v238, 0x3e903f40, v144
	;; [unrolled: 1-line block ×3, first 2 shown]
	v_fma_f32 v145, v160, s3, -v145
	v_fmac_f32_e32 v161, 0x3f68dda4, v144
	v_add_f32_e32 v136, v136, v149
	v_add_f32_e32 v140, v140, v148
	;; [unrolled: 1-line block ×3, first 2 shown]
	v_mul_f32_e32 v148, 0x3f0a6770, v246
	v_mul_f32_e32 v149, 0x3f575c64, v244
	;; [unrolled: 1-line block ×3, first 2 shown]
	v_add_f32_e32 v238, v238, v242
	v_add_f32_e32 v237, v237, v241
	;; [unrolled: 1-line block ×4, first 2 shown]
	v_mov_b32_e32 v144, v148
	v_mov_b32_e32 v145, v149
	;; [unrolled: 1-line block ×3, first 2 shown]
	v_fmac_f32_e32 v137, 0x3e903f40, v245
	v_fmac_f32_e32 v144, 0x3f575c64, v243
	;; [unrolled: 1-line block ×3, first 2 shown]
	v_fma_f32 v148, v243, s2, -v148
	v_fmac_f32_e32 v152, 0xbf27a4f4, v243
	v_add_f32_e32 v137, v137, v164
	v_add_f32_e32 v144, v144, v165
	;; [unrolled: 1-line block ×4, first 2 shown]
	v_fmac_f32_e32 v149, 0x3f0a6770, v245
	v_add_f32_e32 v152, v152, v173
	v_mul_f32_e32 v157, 0xbf27a4f4, v244
	v_fma_f32 v156, v243, s5, -v156
	v_mul_f32_e32 v164, 0x3f68dda4, v246
	v_mul_f32_e32 v165, 0x3ed4b147, v244
	;; [unrolled: 1-line block ×4, first 2 shown]
	v_add_f32_e32 v149, v149, v168
	v_mov_b32_e32 v153, v157
	v_add_f32_e32 v156, v156, v169
	v_mov_b32_e32 v160, v164
	v_mov_b32_e32 v161, v165
	;; [unrolled: 1-line block ×4, first 2 shown]
	v_fmac_f32_e32 v153, 0x3f4178ce, v245
	v_fmac_f32_e32 v157, 0xbf4178ce, v245
	;; [unrolled: 1-line block ×4, first 2 shown]
	v_fma_f32 v164, v243, s3, -v164
	v_fmac_f32_e32 v165, 0x3f68dda4, v245
	v_fmac_f32_e32 v168, 0xbe11bafb, v243
	;; [unrolled: 1-line block ×3, first 2 shown]
	v_fma_f32 v172, v243, s4, -v172
	v_fmac_f32_e32 v173, 0xbf7d64f0, v245
	v_add_f32_e32 v153, v153, v232
	v_add_f32_e32 v157, v157, v176
	;; [unrolled: 1-line block ×10, first 2 shown]
	s_waitcnt lgkmcnt(0)
	; wave barrier
	ds_write2_b64 v230, v[132:133], v[134:135] offset1:1
	ds_write2_b64 v230, v[142:143], v[150:151] offset0:2 offset1:3
	ds_write2_b64 v230, v[158:159], v[166:167] offset0:4 offset1:5
	;; [unrolled: 1-line block ×4, first 2 shown]
	ds_write_b64 v230, v[138:139] offset:80
	ds_write2_b64 v231, v[174:175], v[136:137] offset1:1
	ds_write2_b64 v231, v[144:145], v[152:153] offset0:2 offset1:3
	ds_write2_b64 v231, v[160:161], v[168:169] offset0:4 offset1:5
	ds_write2_b64 v231, v[172:173], v[164:165] offset0:6 offset1:7
	ds_write2_b64 v231, v[156:157], v[148:149] offset0:8 offset1:9
	ds_write_b64 v231, v[140:141] offset:80
	s_and_saveexec_b64 s[0:1], vcc
	s_cbranch_execz .LBB0_13
; %bb.12:
	v_add_f32_e32 v140, v226, v129
	v_mul_f32_e32 v142, 0xbf75a155, v140
	v_add_f32_e32 v141, v3, v5
	v_sub_f32_e32 v143, v128, v225
	v_mov_b32_e32 v132, v142
	v_mul_f32_e32 v144, 0x3f575c64, v141
	v_fmac_f32_e32 v132, 0x3e903f40, v143
	v_sub_f32_e32 v145, v4, v2
	v_mov_b32_e32 v133, v144
	v_add_f32_e32 v146, v1, v7
	v_add_f32_e32 v132, v131, v132
	v_fmac_f32_e32 v133, 0xbf0a6770, v145
	v_mul_f32_e32 v147, 0xbf27a4f4, v146
	v_add_f32_e32 v132, v133, v132
	v_sub_f32_e32 v148, v6, v0
	v_mov_b32_e32 v133, v147
	v_add_f32_e32 v149, v15, v9
	v_fmac_f32_e32 v133, 0x3f4178ce, v148
	v_mul_f32_e32 v150, 0x3ed4b147, v149
	v_add_f32_e32 v132, v133, v132
	v_sub_f32_e32 v151, v8, v14
	v_mov_b32_e32 v133, v150
	;; [unrolled: 6-line block ×3, first 2 shown]
	v_sub_f32_e32 v156, v129, v226
	v_fmac_f32_e32 v133, 0x3f7d64f0, v154
	v_mul_f32_e32 v157, 0xbe903f40, v156
	v_sub_f32_e32 v159, v5, v3
	v_add_f32_e32 v133, v133, v132
	v_add_f32_e32 v155, v225, v128
	v_mov_b32_e32 v132, v157
	v_mul_f32_e32 v160, 0x3f0a6770, v159
	v_fmac_f32_e32 v132, 0xbf75a155, v155
	v_add_f32_e32 v158, v2, v4
	v_mov_b32_e32 v134, v160
	v_sub_f32_e32 v162, v7, v1
	v_add_f32_e32 v132, v130, v132
	v_fmac_f32_e32 v134, 0x3f575c64, v158
	v_mul_f32_e32 v163, 0xbf4178ce, v162
	v_add_f32_e32 v132, v134, v132
	v_add_f32_e32 v161, v0, v6
	v_mov_b32_e32 v134, v163
	v_sub_f32_e32 v165, v9, v15
	v_fmac_f32_e32 v134, 0xbf27a4f4, v161
	v_mul_f32_e32 v166, 0x3f68dda4, v165
	v_add_f32_e32 v132, v134, v132
	v_add_f32_e32 v164, v14, v8
	v_mov_b32_e32 v134, v166
	v_sub_f32_e32 v168, v11, v13
	v_fmac_f32_e32 v134, 0x3ed4b147, v164
	v_mul_f32_e32 v169, 0xbf7d64f0, v168
	v_add_f32_e32 v132, v134, v132
	v_add_f32_e32 v167, v12, v10
	v_mov_b32_e32 v134, v169
	v_fmac_f32_e32 v134, 0xbe11bafb, v167
	v_mul_f32_e32 v170, 0xbf27a4f4, v140
	v_add_f32_e32 v132, v134, v132
	v_mov_b32_e32 v134, v170
	v_mul_f32_e32 v171, 0xbe11bafb, v141
	v_fmac_f32_e32 v134, 0x3f4178ce, v143
	v_mov_b32_e32 v135, v171
	v_add_f32_e32 v134, v131, v134
	v_fmac_f32_e32 v135, 0xbf7d64f0, v145
	v_mul_f32_e32 v172, 0x3f575c64, v146
	v_add_f32_e32 v134, v135, v134
	v_mov_b32_e32 v135, v172
	v_fmac_f32_e32 v135, 0x3f0a6770, v148
	v_mul_f32_e32 v173, 0xbf75a155, v149
	v_add_f32_e32 v134, v135, v134
	v_mov_b32_e32 v135, v173
	;; [unrolled: 4-line block ×4, first 2 shown]
	v_mul_f32_e32 v176, 0x3f7d64f0, v159
	v_fmac_f32_e32 v134, 0xbf27a4f4, v155
	v_mov_b32_e32 v136, v176
	v_add_f32_e32 v134, v130, v134
	v_fmac_f32_e32 v136, 0xbe11bafb, v158
	v_mul_f32_e32 v177, 0xbf0a6770, v162
	v_add_f32_e32 v134, v136, v134
	v_mov_b32_e32 v136, v177
	v_fmac_f32_e32 v136, 0x3f575c64, v161
	v_mul_f32_e32 v230, 0xbe903f40, v165
	v_add_f32_e32 v134, v136, v134
	v_mov_b32_e32 v136, v230
	;; [unrolled: 4-line block ×4, first 2 shown]
	v_mul_f32_e32 v233, 0xbf75a155, v141
	v_add_f32_e32 v129, v129, v131
	v_fmac_f32_e32 v136, 0x3f7d64f0, v143
	v_mov_b32_e32 v137, v233
	v_add_f32_e32 v5, v5, v129
	v_add_f32_e32 v136, v131, v136
	v_fmac_f32_e32 v137, 0xbe903f40, v145
	v_mul_f32_e32 v237, 0x3ed4b147, v146
	v_add_f32_e32 v5, v7, v5
	v_add_f32_e32 v136, v137, v136
	v_mov_b32_e32 v137, v237
	v_add_f32_e32 v5, v9, v5
	v_fmac_f32_e32 v137, 0xbf68dda4, v148
	v_mul_f32_e32 v238, 0x3f575c64, v149
	v_add_f32_e32 v5, v11, v5
	v_add_f32_e32 v136, v137, v136
	v_mov_b32_e32 v137, v238
	;; [unrolled: 6-line block ×3, first 2 shown]
	v_add_f32_e32 v1, v1, v5
	v_fmac_f32_e32 v137, 0x3f4178ce, v154
	v_mul_f32_e32 v240, 0xbf7d64f0, v156
	v_add_f32_e32 v1, v3, v1
	v_add_f32_e32 v3, v128, v130
	v_add_f32_e32 v137, v137, v136
	v_mov_b32_e32 v136, v240
	v_mul_f32_e32 v241, 0x3e903f40, v159
	v_add_f32_e32 v3, v4, v3
	v_fmac_f32_e32 v136, 0xbe11bafb, v155
	v_mov_b32_e32 v138, v241
	v_add_f32_e32 v3, v6, v3
	v_add_f32_e32 v136, v130, v136
	v_fmac_f32_e32 v138, 0xbf75a155, v158
	v_mul_f32_e32 v242, 0x3f68dda4, v162
	v_add_f32_e32 v3, v8, v3
	v_add_f32_e32 v136, v138, v136
	v_mov_b32_e32 v138, v242
	v_add_f32_e32 v3, v10, v3
	v_fmac_f32_e32 v138, 0x3ed4b147, v161
	v_mul_f32_e32 v243, 0xbf0a6770, v165
	v_add_f32_e32 v3, v12, v3
	v_add_f32_e32 v136, v138, v136
	v_mov_b32_e32 v138, v243
	v_add_f32_e32 v3, v14, v3
	v_fmac_f32_e32 v138, 0x3f575c64, v164
	v_mul_f32_e32 v244, 0xbf4178ce, v168
	v_add_f32_e32 v0, v0, v3
	v_fmac_f32_e32 v142, 0xbe903f40, v143
	v_add_f32_e32 v136, v138, v136
	v_mov_b32_e32 v138, v244
	v_add_f32_e32 v0, v2, v0
	v_add_f32_e32 v2, v131, v142
	v_fmac_f32_e32 v144, 0x3f0a6770, v145
	v_fmac_f32_e32 v138, 0xbf27a4f4, v167
	v_mul_f32_e32 v245, 0x3ed4b147, v140
	v_add_f32_e32 v2, v144, v2
	v_fmac_f32_e32 v147, 0xbf4178ce, v148
	v_add_f32_e32 v136, v138, v136
	v_mov_b32_e32 v138, v245
	v_mul_f32_e32 v246, 0xbf27a4f4, v141
	v_add_f32_e32 v2, v147, v2
	v_fmac_f32_e32 v150, 0x3f68dda4, v151
	v_fmac_f32_e32 v138, 0x3f68dda4, v143
	v_mov_b32_e32 v139, v246
	v_add_f32_e32 v2, v150, v2
	v_fmac_f32_e32 v153, 0xbf7d64f0, v154
	v_add_f32_e32 v138, v131, v138
	v_fmac_f32_e32 v139, 0x3f4178ce, v145
	v_mul_f32_e32 v247, 0xbf75a155, v146
	v_add_f32_e32 v3, v153, v2
	v_fma_f32 v2, v155, s12, -v157
	v_add_f32_e32 v138, v139, v138
	v_mov_b32_e32 v139, v247
	v_add_f32_e32 v2, v130, v2
	v_fma_f32 v4, v158, s2, -v160
	v_fmac_f32_e32 v139, 0xbe903f40, v148
	v_mul_f32_e32 v248, 0xbe11bafb, v149
	v_add_f32_e32 v2, v4, v2
	v_fma_f32 v4, v161, s5, -v163
	v_add_f32_e32 v138, v139, v138
	v_mov_b32_e32 v139, v248
	v_add_f32_e32 v2, v4, v2
	v_fma_f32 v4, v164, s3, -v166
	v_fmac_f32_e32 v139, 0xbf7d64f0, v151
	v_mul_f32_e32 v249, 0x3f575c64, v152
	v_add_f32_e32 v2, v4, v2
	v_fma_f32 v4, v167, s4, -v169
	v_fmac_f32_e32 v170, 0xbf4178ce, v143
	v_add_f32_e32 v138, v139, v138
	v_mov_b32_e32 v139, v249
	v_add_f32_e32 v2, v4, v2
	v_add_f32_e32 v4, v131, v170
	v_fmac_f32_e32 v171, 0x3f7d64f0, v145
	v_fmac_f32_e32 v139, 0xbf0a6770, v154
	v_mul_f32_e32 v250, 0xbf68dda4, v156
	v_add_f32_e32 v4, v171, v4
	v_fmac_f32_e32 v172, 0xbf0a6770, v148
	v_add_f32_e32 v139, v139, v138
	v_mov_b32_e32 v138, v250
	v_mul_f32_e32 v251, 0xbf4178ce, v159
	v_add_f32_e32 v4, v172, v4
	v_fmac_f32_e32 v173, 0xbe903f40, v151
	v_fmac_f32_e32 v138, 0x3ed4b147, v155
	v_mov_b32_e32 v252, v251
	v_add_f32_e32 v4, v173, v4
	v_fmac_f32_e32 v174, 0x3f68dda4, v154
	v_add_f32_e32 v138, v130, v138
	v_fmac_f32_e32 v252, 0xbf27a4f4, v158
	v_add_f32_e32 v5, v174, v4
	v_fma_f32 v4, v155, s5, -v175
	v_add_f32_e32 v138, v252, v138
	v_mul_f32_e32 v252, 0x3e903f40, v162
	v_add_f32_e32 v4, v130, v4
	v_fma_f32 v6, v158, s4, -v176
	v_mov_b32_e32 v253, v252
	v_add_f32_e32 v4, v6, v4
	v_fma_f32 v6, v161, s2, -v177
	v_fmac_f32_e32 v253, 0xbf75a155, v161
	v_add_f32_e32 v4, v6, v4
	v_fma_f32 v6, v164, s12, -v230
	v_add_f32_e32 v138, v253, v138
	v_mul_f32_e32 v253, 0x3f7d64f0, v165
	v_add_f32_e32 v4, v6, v4
	v_fma_f32 v6, v167, s3, -v231
	v_fmac_f32_e32 v232, 0xbf7d64f0, v143
	v_mov_b32_e32 v254, v253
	v_add_f32_e32 v4, v6, v4
	v_add_f32_e32 v6, v131, v232
	v_fmac_f32_e32 v233, 0x3e903f40, v145
	v_fmac_f32_e32 v254, 0xbe11bafb, v164
	v_add_f32_e32 v6, v233, v6
	v_fmac_f32_e32 v237, 0x3f68dda4, v148
	v_add_f32_e32 v138, v254, v138
	v_mul_f32_e32 v254, 0x3f0a6770, v168
	v_add_f32_e32 v6, v237, v6
	v_fmac_f32_e32 v238, 0xbf0a6770, v151
	v_mov_b32_e32 v255, v254
	v_add_f32_e32 v6, v238, v6
	v_fmac_f32_e32 v239, 0xbf4178ce, v154
	v_fmac_f32_e32 v255, 0x3f575c64, v167
	v_add_f32_e32 v7, v239, v6
	v_fma_f32 v6, v155, s4, -v240
	v_add_f32_e32 v138, v255, v138
	v_mul_f32_e32 v255, 0x3f575c64, v140
	v_add_f32_e32 v6, v130, v6
	v_fma_f32 v8, v158, s12, -v241
	buffer_store_dword v132, off, s[20:23], 0 offset:28 ; 4-byte Folded Spill
	s_nop 0
	buffer_store_dword v133, off, s[20:23], 0 offset:32 ; 4-byte Folded Spill
	v_mov_b32_e32 v140, v255
	buffer_store_dword v227, off, s[20:23], 0 offset:24 ; 4-byte Folded Spill
	v_mov_b32_e32 v227, v224
	v_mov_b32_e32 v224, v235
	;; [unrolled: 1-line block ×3, first 2 shown]
	v_mul_f32_e32 v229, 0x3ed4b147, v141
	v_add_f32_e32 v6, v8, v6
	v_fma_f32 v8, v161, s3, -v242
	v_fmac_f32_e32 v140, 0x3f0a6770, v143
	v_mov_b32_e32 v141, v229
	v_add_f32_e32 v6, v8, v6
	v_fma_f32 v8, v164, s2, -v243
	v_add_f32_e32 v140, v131, v140
	v_fmac_f32_e32 v141, 0x3f68dda4, v145
	v_mul_f32_e32 v146, 0xbe11bafb, v146
	v_add_f32_e32 v6, v8, v6
	v_fma_f32 v8, v167, s5, -v244
	v_fmac_f32_e32 v245, 0xbf68dda4, v143
	v_add_f32_e32 v140, v141, v140
	v_mov_b32_e32 v141, v146
	v_add_f32_e32 v6, v8, v6
	v_add_f32_e32 v8, v131, v245
	v_fmac_f32_e32 v246, 0xbf4178ce, v145
	v_fmac_f32_e32 v141, 0x3f7d64f0, v148
	v_mul_f32_e32 v149, 0xbf27a4f4, v149
	v_add_f32_e32 v8, v246, v8
	v_fmac_f32_e32 v247, 0x3e903f40, v148
	v_add_f32_e32 v140, v141, v140
	v_mov_b32_e32 v141, v149
	v_add_f32_e32 v8, v247, v8
	v_fmac_f32_e32 v248, 0x3f7d64f0, v151
	v_fmac_f32_e32 v141, 0x3f4178ce, v151
	v_mul_f32_e32 v152, 0xbf75a155, v152
	v_add_f32_e32 v8, v248, v8
	v_fmac_f32_e32 v249, 0x3f0a6770, v154
	v_add_f32_e32 v140, v141, v140
	v_mov_b32_e32 v141, v152
	v_add_f32_e32 v9, v249, v8
	v_fma_f32 v8, v155, s3, -v250
	v_fmac_f32_e32 v141, 0x3e903f40, v154
	v_mul_f32_e32 v156, 0xbf0a6770, v156
	v_add_f32_e32 v8, v130, v8
	v_fma_f32 v10, v158, s5, -v251
	v_add_f32_e32 v141, v141, v140
	v_mov_b32_e32 v140, v156
	v_mov_b32_e32 v132, v234
	v_mul_f32_e32 v234, 0xbf68dda4, v159
	v_add_f32_e32 v8, v10, v8
	v_fma_f32 v10, v161, s12, -v252
	v_fmac_f32_e32 v140, 0x3f575c64, v155
	v_mov_b32_e32 v159, v234
	v_add_f32_e32 v8, v10, v8
	v_fma_f32 v10, v164, s4, -v253
	v_add_f32_e32 v140, v130, v140
	v_fmac_f32_e32 v159, 0x3ed4b147, v158
	v_add_f32_e32 v8, v10, v8
	v_fma_f32 v10, v167, s2, -v254
	v_fmac_f32_e32 v255, 0xbf0a6770, v143
	v_add_f32_e32 v140, v159, v140
	v_mul_f32_e32 v159, 0xbf7d64f0, v162
	v_add_f32_e32 v8, v10, v8
	v_add_f32_e32 v10, v131, v255
	v_fmac_f32_e32 v229, 0xbf68dda4, v145
	v_mov_b32_e32 v162, v159
	v_add_f32_e32 v10, v229, v10
	v_fmac_f32_e32 v146, 0xbf7d64f0, v148
	v_fmac_f32_e32 v162, 0xbe11bafb, v161
	v_add_f32_e32 v10, v146, v10
	v_fmac_f32_e32 v149, 0xbf4178ce, v151
	v_add_f32_e32 v140, v162, v140
	v_mul_f32_e32 v162, 0xbf4178ce, v165
	v_add_f32_e32 v10, v149, v10
	v_fmac_f32_e32 v152, 0xbe903f40, v154
	v_mov_b32_e32 v165, v162
	v_add_f32_e32 v11, v152, v10
	v_fma_f32 v10, v155, s2, -v156
	v_fmac_f32_e32 v165, 0xbf27a4f4, v164
	v_add_f32_e32 v10, v130, v10
	v_fma_f32 v12, v158, s3, -v234
	v_add_f32_e32 v140, v165, v140
	v_mul_f32_e32 v165, 0xbe903f40, v168
	v_add_f32_e32 v10, v12, v10
	v_fma_f32 v12, v161, s4, -v159
	v_mov_b32_e32 v168, v165
	v_add_f32_e32 v10, v12, v10
	v_fma_f32 v12, v164, s5, -v162
	v_fmac_f32_e32 v168, 0xbf75a155, v167
	v_add_f32_e32 v10, v12, v10
	v_fma_f32 v12, v167, s12, -v165
	v_add_f32_e32 v140, v168, v140
	v_add_f32_e32 v1, v226, v1
	;; [unrolled: 1-line block ×4, first 2 shown]
	v_lshlrev_b32_e32 v12, 3, v235
	v_mov_b32_e32 v235, v224
	v_mov_b32_e32 v224, v227
	buffer_load_dword v227, off, s[20:23], 0 offset:24 ; 4-byte Folded Reload
	ds_write2_b64 v12, v[0:1], v[140:141] offset1:1
	ds_write2_b64 v12, v[138:139], v[136:137] offset0:2 offset1:3
	buffer_load_dword v0, off, s[20:23], 0 offset:28 ; 4-byte Folded Reload
	buffer_load_dword v1, off, s[20:23], 0 offset:32 ; 4-byte Folded Reload
	v_mov_b32_e32 v234, v132
	s_waitcnt vmcnt(0)
	ds_write2_b64 v12, v[134:135], v[0:1] offset0:4 offset1:5
	ds_write2_b64 v12, v[2:3], v[4:5] offset0:6 offset1:7
	;; [unrolled: 1-line block ×3, first 2 shown]
	ds_write_b64 v12, v[10:11] offset:80
.LBB0_13:
	s_or_b64 exec, exec, s[0:1]
	buffer_load_dword v0, off, s[20:23], 0  ; 4-byte Folded Reload
	buffer_load_dword v1, off, s[20:23], 0 offset:4 ; 4-byte Folded Reload
	v_add_u32_e32 v131, 0x400, v228
	s_waitcnt lgkmcnt(0)
	; wave barrier
	s_waitcnt lgkmcnt(0)
	v_add_u32_e32 v128, 0x1000, v228
	ds_read2_b64 v[132:135], v128 offset0:38 offset1:93
	v_add_u32_e32 v15, 0x1800, v228
	ds_read2_b64 v[136:139], v15 offset0:2 offset1:57
	v_add_u32_e32 v129, 0x800, v228
	ds_read2_b64 v[4:7], v228 offset1:55
	v_add_u32_e32 v130, 0x1c00, v228
	s_mov_b32 s2, 0x4a19b16e
	s_mov_b32 s3, 0x3f47d4ce
	s_movk_i32 s12, 0x2000
	s_waitcnt vmcnt(0)
	v_mov_b32_e32 v1, v0
	v_mad_u64_u32 v[12:13], s[0:1], s10, v1, 0
	v_mov_b32_e32 v0, v13
	v_mad_u64_u32 v[13:14], s[0:1], s11, v1, v[0:1]
	ds_read2_b64 v[0:3], v131 offset0:92 offset1:147
	v_add_u32_e32 v14, 0x2000, v228
	ds_read2_b64 v[140:143], v14 offset0:76 offset1:131
	ds_read2_b64 v[144:147], v129 offset0:74 offset1:129
	;; [unrolled: 1-line block ×8, first 2 shown]
	ds_read_b64 v[168:169], v228 offset:10560
	s_waitcnt lgkmcnt(9)
	v_mul_f32_e32 v170, v21, v3
	v_fmac_f32_e32 v170, v20, v2
	v_mul_f32_e32 v2, v21, v2
	v_fma_f32 v171, v20, v3, -v2
	v_mul_f32_e32 v21, v23, v133
	v_mul_f32_e32 v2, v23, v132
	v_fmac_f32_e32 v21, v22, v132
	v_fma_f32 v22, v22, v133, -v2
	v_mul_f32_e32 v2, v17, v138
	v_mul_f32_e32 v23, v17, v139
	v_fma_f32 v132, v16, v139, -v2
	s_waitcnt lgkmcnt(8)
	v_mul_f32_e32 v2, v19, v140
	v_fmac_f32_e32 v23, v16, v138
	v_mul_f32_e32 v133, v19, v141
	v_fma_f32 v138, v18, v141, -v2
	s_waitcnt lgkmcnt(7)
	v_mul_f32_e32 v2, v29, v144
	v_fmac_f32_e32 v133, v18, v140
	v_mul_f32_e32 v139, v29, v145
	v_fma_f32 v140, v28, v145, -v2
	v_mul_f32_e32 v29, v31, v135
	v_mul_f32_e32 v2, v31, v134
	v_fmac_f32_e32 v29, v30, v134
	v_fma_f32 v30, v30, v135, -v2
	s_waitcnt lgkmcnt(6)
	v_mul_f32_e32 v2, v25, v148
	v_fma_f32 v134, v24, v149, -v2
	v_mul_f32_e32 v2, v27, v142
	v_mul_f32_e32 v135, v27, v143
	v_fma_f32 v141, v26, v143, -v2
	v_mul_f32_e32 v2, v37, v146
	v_fmac_f32_e32 v135, v26, v142
	v_mul_f32_e32 v142, v37, v147
	v_fma_f32 v143, v36, v147, -v2
	s_waitcnt lgkmcnt(4)
	v_mul_f32_e32 v37, v39, v153
	v_mul_f32_e32 v2, v39, v152
	v_fmac_f32_e32 v37, v38, v152
	v_fma_f32 v38, v38, v153, -v2
	v_mul_f32_e32 v2, v33, v150
	v_fmac_f32_e32 v139, v28, v144
	v_fma_f32 v144, v32, v151, -v2
	s_waitcnt lgkmcnt(3)
	v_mul_f32_e32 v2, v35, v156
	v_mul_f32_e32 v31, v25, v149
	v_fmac_f32_e32 v142, v36, v146
	v_fma_f32 v146, v34, v157, -v2
	s_waitcnt lgkmcnt(2)
	v_mul_f32_e32 v2, v45, v160
	v_fmac_f32_e32 v31, v24, v148
	v_mul_f32_e32 v147, v45, v161
	v_fma_f32 v148, v44, v161, -v2
	v_mul_f32_e32 v45, v47, v155
	v_mul_f32_e32 v2, v47, v154
	v_fmac_f32_e32 v45, v46, v154
	v_fma_f32 v46, v46, v155, -v2
	s_waitcnt lgkmcnt(1)
	v_mul_f32_e32 v2, v41, v164
	v_add_f32_e32 v3, v21, v23
	v_fma_f32 v149, v40, v165, -v2
	v_mul_f32_e32 v2, v43, v158
	v_fma_f32 v16, -0.5, v3, v4
	v_mul_f32_e32 v39, v33, v151
	v_fma_f32 v151, v42, v159, -v2
	v_mul_f32_e32 v2, v53, v162
	v_sub_f32_e32 v3, v171, v138
	v_mov_b32_e32 v18, v16
	v_mul_f32_e32 v152, v53, v163
	v_fma_f32 v153, v52, v163, -v2
	v_mul_f32_e32 v53, v55, v137
	v_mul_f32_e32 v2, v55, v136
	v_fmac_f32_e32 v18, 0xbf737871, v3
	v_sub_f32_e32 v17, v22, v132
	v_sub_f32_e32 v19, v170, v21
	;; [unrolled: 1-line block ×3, first 2 shown]
	v_fmac_f32_e32 v16, 0x3f737871, v3
	v_fmac_f32_e32 v53, v54, v136
	v_fma_f32 v54, v54, v137, -v2
	v_mul_f32_e32 v2, v49, v166
	v_fmac_f32_e32 v18, 0xbf167918, v17
	v_add_f32_e32 v19, v19, v20
	v_fmac_f32_e32 v16, 0x3f167918, v17
	v_fma_f32 v136, v48, v167, -v2
	s_waitcnt lgkmcnt(0)
	v_mul_f32_e32 v2, v51, v168
	v_fmac_f32_e32 v18, 0x3e9e377a, v19
	v_fmac_f32_e32 v16, 0x3e9e377a, v19
	v_add_f32_e32 v19, v170, v133
	v_fma_f32 v154, v50, v169, -v2
	v_add_f32_e32 v2, v4, v170
	v_fma_f32 v4, -0.5, v19, v4
	v_mov_b32_e32 v20, v4
	v_fmac_f32_e32 v20, 0x3f737871, v17
	v_sub_f32_e32 v19, v21, v170
	v_sub_f32_e32 v24, v23, v133
	v_fmac_f32_e32 v4, 0xbf737871, v17
	v_add_f32_e32 v17, v22, v132
	v_fmac_f32_e32 v20, 0xbf167918, v3
	v_add_f32_e32 v19, v19, v24
	v_fmac_f32_e32 v4, 0x3f167918, v3
	v_fma_f32 v17, -0.5, v17, v5
	v_add_f32_e32 v2, v2, v21
	v_fmac_f32_e32 v20, 0x3e9e377a, v19
	v_fmac_f32_e32 v4, 0x3e9e377a, v19
	v_sub_f32_e32 v24, v170, v133
	v_mov_b32_e32 v19, v17
	v_add_f32_e32 v2, v2, v23
	v_fmac_f32_e32 v19, 0x3f737871, v24
	v_sub_f32_e32 v23, v21, v23
	v_sub_f32_e32 v21, v171, v22
	;; [unrolled: 1-line block ×3, first 2 shown]
	v_fmac_f32_e32 v17, 0xbf737871, v24
	v_fmac_f32_e32 v19, 0x3f167918, v23
	v_add_f32_e32 v21, v21, v25
	v_fmac_f32_e32 v17, 0xbf167918, v23
	v_fmac_f32_e32 v19, 0x3e9e377a, v21
	;; [unrolled: 1-line block ×3, first 2 shown]
	v_add_f32_e32 v21, v171, v138
	v_add_f32_e32 v3, v5, v171
	v_fma_f32 v5, -0.5, v21, v5
	v_mov_b32_e32 v21, v5
	v_fmac_f32_e32 v21, 0xbf737871, v23
	v_fmac_f32_e32 v5, 0x3f737871, v23
	v_add_f32_e32 v23, v29, v31
	v_fmac_f32_e32 v21, 0x3f167918, v24
	v_fmac_f32_e32 v5, 0xbf167918, v24
	v_fma_f32 v24, -0.5, v23, v6
	v_add_f32_e32 v3, v3, v22
	v_sub_f32_e32 v22, v22, v171
	v_sub_f32_e32 v25, v132, v138
	;; [unrolled: 1-line block ×3, first 2 shown]
	v_mov_b32_e32 v26, v24
	v_add_f32_e32 v22, v22, v25
	v_fmac_f32_e32 v26, 0xbf737871, v23
	v_sub_f32_e32 v25, v30, v134
	v_sub_f32_e32 v27, v139, v29
	;; [unrolled: 1-line block ×3, first 2 shown]
	v_fmac_f32_e32 v24, 0x3f737871, v23
	v_fmac_f32_e32 v26, 0xbf167918, v25
	v_add_f32_e32 v27, v27, v28
	v_fmac_f32_e32 v24, 0x3f167918, v25
	v_fmac_f32_e32 v26, 0x3e9e377a, v27
	;; [unrolled: 1-line block ×3, first 2 shown]
	v_add_f32_e32 v27, v139, v135
	v_fmac_f32_e32 v21, 0x3e9e377a, v22
	v_fmac_f32_e32 v5, 0x3e9e377a, v22
	v_add_f32_e32 v22, v6, v139
	v_fma_f32 v6, -0.5, v27, v6
	v_mov_b32_e32 v28, v6
	v_fmac_f32_e32 v39, v32, v150
	v_fmac_f32_e32 v28, 0x3f737871, v25
	v_sub_f32_e32 v27, v29, v139
	v_sub_f32_e32 v32, v31, v135
	v_fmac_f32_e32 v6, 0xbf737871, v25
	v_add_f32_e32 v25, v30, v134
	v_fmac_f32_e32 v28, 0xbf167918, v23
	v_add_f32_e32 v27, v27, v32
	v_fmac_f32_e32 v6, 0x3f167918, v23
	v_fma_f32 v25, -0.5, v25, v7
	v_add_f32_e32 v22, v22, v29
	v_fmac_f32_e32 v28, 0x3e9e377a, v27
	v_fmac_f32_e32 v6, 0x3e9e377a, v27
	v_sub_f32_e32 v32, v139, v135
	v_mov_b32_e32 v27, v25
	v_add_f32_e32 v22, v22, v31
	v_fmac_f32_e32 v27, 0x3f737871, v32
	v_sub_f32_e32 v31, v29, v31
	v_sub_f32_e32 v29, v140, v30
	;; [unrolled: 1-line block ×3, first 2 shown]
	v_fmac_f32_e32 v25, 0xbf737871, v32
	v_fmac_f32_e32 v27, 0x3f167918, v31
	v_add_f32_e32 v29, v29, v33
	v_fmac_f32_e32 v25, 0xbf167918, v31
	v_fmac_f32_e32 v27, 0x3e9e377a, v29
	;; [unrolled: 1-line block ×3, first 2 shown]
	v_add_f32_e32 v29, v140, v141
	v_add_f32_e32 v23, v7, v140
	v_fmac_f32_e32 v7, -0.5, v29
	v_mov_b32_e32 v29, v7
	v_fmac_f32_e32 v29, 0xbf737871, v31
	v_fmac_f32_e32 v7, 0x3f737871, v31
	v_add_f32_e32 v31, v37, v39
	v_mul_f32_e32 v145, v35, v157
	v_fmac_f32_e32 v29, 0x3f167918, v32
	v_fmac_f32_e32 v7, 0xbf167918, v32
	v_fma_f32 v32, -0.5, v31, v8
	v_fmac_f32_e32 v145, v34, v156
	v_add_f32_e32 v23, v23, v30
	v_sub_f32_e32 v30, v30, v140
	v_sub_f32_e32 v33, v134, v141
	;; [unrolled: 1-line block ×3, first 2 shown]
	v_mov_b32_e32 v34, v32
	v_add_f32_e32 v30, v30, v33
	v_fmac_f32_e32 v34, 0xbf737871, v31
	v_sub_f32_e32 v33, v38, v144
	v_sub_f32_e32 v35, v142, v37
	;; [unrolled: 1-line block ×3, first 2 shown]
	v_fmac_f32_e32 v32, 0x3f737871, v31
	v_fmac_f32_e32 v34, 0xbf167918, v33
	v_add_f32_e32 v35, v35, v36
	v_fmac_f32_e32 v32, 0x3f167918, v33
	v_fmac_f32_e32 v34, 0x3e9e377a, v35
	;; [unrolled: 1-line block ×3, first 2 shown]
	v_add_f32_e32 v35, v142, v145
	v_fmac_f32_e32 v29, 0x3e9e377a, v30
	v_fmac_f32_e32 v7, 0x3e9e377a, v30
	v_add_f32_e32 v30, v8, v142
	v_fma_f32 v8, -0.5, v35, v8
	v_mul_f32_e32 v47, v41, v165
	v_mov_b32_e32 v36, v8
	v_fmac_f32_e32 v47, v40, v164
	v_fmac_f32_e32 v36, 0x3f737871, v33
	v_sub_f32_e32 v35, v37, v142
	v_sub_f32_e32 v40, v39, v145
	v_fmac_f32_e32 v8, 0xbf737871, v33
	v_add_f32_e32 v33, v38, v144
	v_fmac_f32_e32 v36, 0xbf167918, v31
	v_add_f32_e32 v35, v35, v40
	v_fmac_f32_e32 v8, 0x3f167918, v31
	v_fma_f32 v33, -0.5, v33, v9
	v_add_f32_e32 v30, v30, v37
	v_fmac_f32_e32 v36, 0x3e9e377a, v35
	v_fmac_f32_e32 v8, 0x3e9e377a, v35
	v_sub_f32_e32 v40, v142, v145
	v_mov_b32_e32 v35, v33
	v_add_f32_e32 v30, v30, v39
	v_fmac_f32_e32 v35, 0x3f737871, v40
	v_sub_f32_e32 v39, v37, v39
	v_sub_f32_e32 v37, v143, v38
	;; [unrolled: 1-line block ×3, first 2 shown]
	v_fmac_f32_e32 v33, 0xbf737871, v40
	v_fmac_f32_e32 v35, 0x3f167918, v39
	v_add_f32_e32 v37, v37, v41
	v_fmac_f32_e32 v33, 0xbf167918, v39
	v_fmac_f32_e32 v35, 0x3e9e377a, v37
	;; [unrolled: 1-line block ×3, first 2 shown]
	v_add_f32_e32 v37, v143, v146
	v_add_f32_e32 v31, v9, v143
	v_fma_f32 v9, -0.5, v37, v9
	v_mov_b32_e32 v37, v9
	v_fmac_f32_e32 v37, 0xbf737871, v39
	v_fmac_f32_e32 v9, 0x3f737871, v39
	v_add_f32_e32 v39, v45, v47
	v_mul_f32_e32 v150, v43, v159
	v_fmac_f32_e32 v37, 0x3f167918, v40
	v_fmac_f32_e32 v9, 0xbf167918, v40
	v_fma_f32 v40, -0.5, v39, v10
	v_fmac_f32_e32 v147, v44, v160
	v_fmac_f32_e32 v150, v42, v158
	v_add_f32_e32 v31, v31, v38
	v_sub_f32_e32 v38, v38, v143
	v_sub_f32_e32 v41, v144, v146
	;; [unrolled: 1-line block ×3, first 2 shown]
	v_mov_b32_e32 v42, v40
	v_add_f32_e32 v38, v38, v41
	v_fmac_f32_e32 v42, 0xbf737871, v39
	v_sub_f32_e32 v41, v46, v149
	v_sub_f32_e32 v43, v147, v45
	;; [unrolled: 1-line block ×3, first 2 shown]
	v_fmac_f32_e32 v40, 0x3f737871, v39
	v_fmac_f32_e32 v42, 0xbf167918, v41
	v_add_f32_e32 v43, v43, v44
	v_fmac_f32_e32 v40, 0x3f167918, v41
	v_fmac_f32_e32 v42, 0x3e9e377a, v43
	;; [unrolled: 1-line block ×3, first 2 shown]
	v_add_f32_e32 v43, v147, v150
	v_fmac_f32_e32 v37, 0x3e9e377a, v38
	v_fmac_f32_e32 v9, 0x3e9e377a, v38
	v_add_f32_e32 v38, v10, v147
	v_fma_f32 v10, -0.5, v43, v10
	v_mul_f32_e32 v55, v49, v167
	v_mov_b32_e32 v44, v10
	v_fmac_f32_e32 v55, v48, v166
	v_fmac_f32_e32 v44, 0x3f737871, v41
	v_sub_f32_e32 v43, v45, v147
	v_sub_f32_e32 v48, v47, v150
	v_fmac_f32_e32 v10, 0xbf737871, v41
	v_add_f32_e32 v41, v46, v149
	v_fmac_f32_e32 v44, 0xbf167918, v39
	v_add_f32_e32 v43, v43, v48
	v_fmac_f32_e32 v10, 0x3f167918, v39
	v_fma_f32 v41, -0.5, v41, v11
	v_add_f32_e32 v38, v38, v45
	v_fmac_f32_e32 v44, 0x3e9e377a, v43
	v_fmac_f32_e32 v10, 0x3e9e377a, v43
	v_sub_f32_e32 v48, v147, v150
	v_mov_b32_e32 v43, v41
	v_add_f32_e32 v38, v38, v47
	v_fmac_f32_e32 v43, 0x3f737871, v48
	v_sub_f32_e32 v47, v45, v47
	v_sub_f32_e32 v45, v148, v46
	;; [unrolled: 1-line block ×3, first 2 shown]
	v_fmac_f32_e32 v41, 0xbf737871, v48
	v_fmac_f32_e32 v43, 0x3f167918, v47
	v_add_f32_e32 v45, v45, v49
	v_fmac_f32_e32 v41, 0xbf167918, v47
	v_fmac_f32_e32 v43, 0x3e9e377a, v45
	;; [unrolled: 1-line block ×3, first 2 shown]
	v_add_f32_e32 v45, v148, v151
	v_add_f32_e32 v39, v11, v148
	v_fmac_f32_e32 v11, -0.5, v45
	v_mov_b32_e32 v45, v11
	v_add_f32_e32 v3, v3, v132
	v_add_f32_e32 v39, v39, v46
	v_fmac_f32_e32 v45, 0xbf737871, v47
	v_sub_f32_e32 v46, v46, v148
	v_sub_f32_e32 v49, v149, v151
	v_fmac_f32_e32 v11, 0x3f737871, v47
	v_add_f32_e32 v2, v2, v133
	v_add_f32_e32 v3, v3, v138
	;; [unrolled: 1-line block ×5, first 2 shown]
	v_fmac_f32_e32 v45, 0x3f167918, v48
	v_add_f32_e32 v46, v46, v49
	v_fmac_f32_e32 v11, 0xbf167918, v48
	v_add_f32_e32 v22, v22, v135
	v_add_f32_e32 v23, v23, v141
	;; [unrolled: 1-line block ×6, first 2 shown]
	v_fmac_f32_e32 v45, 0x3e9e377a, v46
	v_fmac_f32_e32 v11, 0x3e9e377a, v46
	s_waitcnt lgkmcnt(0)
	; wave barrier
	ds_write2_b64 v234, v[2:3], v[18:19] offset1:11
	ds_write2_b64 v234, v[20:21], v[4:5] offset0:22 offset1:33
	ds_write_b64 v234, v[16:17] offset:352
	ds_write2_b64 v235, v[22:23], v[26:27] offset1:11
	ds_write2_b64 v235, v[28:29], v[6:7] offset0:22 offset1:33
	ds_write_b64 v235, v[24:25] offset:352
	;; [unrolled: 3-line block ×4, first 2 shown]
	buffer_load_dword v2, off, s[20:23], 0 offset:8 ; 4-byte Folded Reload
	v_add_f32_e32 v47, v53, v55
	v_mul_f32_e32 v137, v51, v169
	v_fma_f32 v48, -0.5, v47, v0
	v_fmac_f32_e32 v152, v52, v162
	v_fmac_f32_e32 v137, v50, v168
	v_sub_f32_e32 v47, v153, v154
	v_mov_b32_e32 v50, v48
	v_fmac_f32_e32 v50, 0xbf737871, v47
	v_sub_f32_e32 v49, v54, v136
	v_sub_f32_e32 v51, v152, v53
	;; [unrolled: 1-line block ×3, first 2 shown]
	v_fmac_f32_e32 v48, 0x3f737871, v47
	v_fmac_f32_e32 v50, 0xbf167918, v49
	v_add_f32_e32 v51, v51, v52
	v_fmac_f32_e32 v48, 0x3f167918, v49
	v_fmac_f32_e32 v50, 0x3e9e377a, v51
	;; [unrolled: 1-line block ×3, first 2 shown]
	v_add_f32_e32 v51, v152, v137
	v_add_f32_e32 v46, v0, v152
	v_fma_f32 v0, -0.5, v51, v0
	v_mov_b32_e32 v52, v0
	v_fmac_f32_e32 v52, 0x3f737871, v49
	v_sub_f32_e32 v51, v53, v152
	v_sub_f32_e32 v132, v55, v137
	v_fmac_f32_e32 v0, 0xbf737871, v49
	v_add_f32_e32 v49, v54, v136
	v_fmac_f32_e32 v52, 0xbf167918, v47
	v_add_f32_e32 v51, v51, v132
	v_fmac_f32_e32 v0, 0x3f167918, v47
	v_fma_f32 v49, -0.5, v49, v1
	v_add_f32_e32 v46, v46, v53
	v_fmac_f32_e32 v52, 0x3e9e377a, v51
	v_fmac_f32_e32 v0, 0x3e9e377a, v51
	v_sub_f32_e32 v132, v152, v137
	v_mov_b32_e32 v51, v49
	v_add_f32_e32 v46, v46, v55
	v_fmac_f32_e32 v51, 0x3f737871, v132
	v_sub_f32_e32 v55, v53, v55
	v_sub_f32_e32 v53, v153, v54
	v_sub_f32_e32 v133, v154, v136
	v_fmac_f32_e32 v49, 0xbf737871, v132
	v_fmac_f32_e32 v51, 0x3f167918, v55
	v_add_f32_e32 v53, v53, v133
	v_fmac_f32_e32 v49, 0xbf167918, v55
	v_fmac_f32_e32 v51, 0x3e9e377a, v53
	;; [unrolled: 1-line block ×3, first 2 shown]
	v_add_f32_e32 v53, v153, v154
	v_add_f32_e32 v47, v1, v153
	v_fmac_f32_e32 v1, -0.5, v53
	v_mov_b32_e32 v53, v1
	v_add_f32_e32 v47, v47, v54
	v_fmac_f32_e32 v53, 0xbf737871, v55
	v_sub_f32_e32 v54, v54, v153
	v_sub_f32_e32 v133, v136, v154
	v_fmac_f32_e32 v1, 0x3f737871, v55
	v_add_f32_e32 v47, v47, v136
	v_fmac_f32_e32 v53, 0x3f167918, v132
	v_add_f32_e32 v54, v54, v133
	;; [unrolled: 2-line block ×3, first 2 shown]
	v_add_f32_e32 v47, v47, v154
	v_fmac_f32_e32 v53, 0x3e9e377a, v54
	v_fmac_f32_e32 v1, 0x3e9e377a, v54
	s_waitcnt vmcnt(0)
	ds_write2_b64 v2, v[46:47], v[50:51] offset1:11
	ds_write2_b64 v2, v[52:53], v[0:1] offset0:22 offset1:33
	ds_write_b64 v2, v[48:49] offset:352
	s_waitcnt lgkmcnt(0)
	; wave barrier
	s_waitcnt lgkmcnt(0)
	ds_read2_b64 v[8:11], v228 offset1:55
	ds_read2_b64 v[0:3], v131 offset0:92 offset1:147
	ds_read2_b64 v[16:19], v128 offset0:38 offset1:93
	;; [unrolled: 1-line block ×11, first 2 shown]
	ds_read_b64 v[52:53], v228 offset:10560
	s_waitcnt lgkmcnt(11)
	v_mul_f32_e32 v54, v61, v3
	v_fmac_f32_e32 v54, v60, v2
	v_mul_f32_e32 v2, v61, v2
	v_fma_f32 v55, v60, v3, -v2
	s_waitcnt lgkmcnt(10)
	v_mul_f32_e32 v2, v63, v16
	v_fma_f32 v133, v62, v17, -v2
	s_waitcnt lgkmcnt(9)
	v_mul_f32_e32 v134, v57, v23
	v_mul_f32_e32 v2, v57, v22
	v_fmac_f32_e32 v134, v56, v22
	v_fma_f32 v22, v56, v23, -v2
	s_waitcnt lgkmcnt(8)
	v_mul_f32_e32 v23, v59, v25
	v_mul_f32_e32 v2, v59, v24
	v_fmac_f32_e32 v23, v58, v24
	v_fma_f32 v24, v58, v25, -v2
	s_waitcnt lgkmcnt(7)
	v_mul_f32_e32 v135, v61, v29
	v_mul_f32_e32 v2, v61, v28
	;; [unrolled: 1-line block ×3, first 2 shown]
	v_fmac_f32_e32 v135, v60, v28
	v_fma_f32 v60, v60, v29, -v2
	v_mul_f32_e32 v29, v63, v19
	v_mul_f32_e32 v2, v63, v18
	v_fmac_f32_e32 v132, v62, v16
	v_fmac_f32_e32 v29, v62, v18
	v_fma_f32 v61, v62, v19, -v2
	s_waitcnt lgkmcnt(6)
	v_mul_f32_e32 v62, v57, v33
	v_mul_f32_e32 v2, v57, v32
	v_fmac_f32_e32 v62, v56, v32
	v_fma_f32 v32, v56, v33, -v2
	v_mul_f32_e32 v2, v59, v26
	v_mul_f32_e32 v33, v59, v27
	v_fma_f32 v56, v58, v27, -v2
	v_mul_f32_e32 v2, v69, v30
	v_fmac_f32_e32 v33, v58, v26
	v_fma_f32 v58, v68, v31, -v2
	s_waitcnt lgkmcnt(4)
	v_mul_f32_e32 v2, v71, v36
	v_mul_f32_e32 v59, v71, v37
	v_fma_f32 v63, v70, v37, -v2
	v_mul_f32_e32 v37, v65, v35
	v_mul_f32_e32 v2, v65, v34
	v_fmac_f32_e32 v37, v64, v34
	v_fma_f32 v64, v64, v35, -v2
	s_waitcnt lgkmcnt(3)
	v_mul_f32_e32 v35, v67, v41
	v_mul_f32_e32 v2, v67, v40
	v_fmac_f32_e32 v35, v66, v40
	v_fma_f32 v40, v66, v41, -v2
	s_waitcnt lgkmcnt(2)
	v_mul_f32_e32 v2, v77, v44
	v_mul_f32_e32 v57, v69, v31
	v_fma_f32 v66, v76, v45, -v2
	v_mul_f32_e32 v2, v79, v38
	v_fmac_f32_e32 v57, v68, v30
	v_fma_f32 v67, v78, v39, -v2
	s_waitcnt lgkmcnt(1)
	v_mul_f32_e32 v68, v73, v49
	v_mul_f32_e32 v2, v73, v48
	v_add_f32_e32 v3, v132, v134
	v_fmac_f32_e32 v68, v72, v48
	v_fma_f32 v48, v72, v49, -v2
	v_mul_f32_e32 v2, v75, v42
	v_fma_f32 v16, -0.5, v3, v8
	v_fma_f32 v69, v74, v43, -v2
	v_mul_f32_e32 v2, v85, v46
	v_mul_f32_e32 v72, v87, v21
	v_sub_f32_e32 v3, v55, v24
	v_mov_b32_e32 v18, v16
	v_fma_f32 v71, v84, v47, -v2
	v_fmac_f32_e32 v72, v86, v20
	v_mul_f32_e32 v2, v87, v20
	v_fmac_f32_e32 v18, 0xbf737871, v3
	v_sub_f32_e32 v17, v133, v22
	v_sub_f32_e32 v19, v54, v132
	;; [unrolled: 1-line block ×3, first 2 shown]
	v_fmac_f32_e32 v16, 0x3f737871, v3
	v_fma_f32 v73, v86, v21, -v2
	v_mul_f32_e32 v2, v81, v50
	v_fmac_f32_e32 v18, 0xbf167918, v17
	v_add_f32_e32 v19, v19, v20
	v_fmac_f32_e32 v16, 0x3f167918, v17
	v_mul_f32_e32 v65, v77, v45
	v_mul_f32_e32 v49, v75, v43
	v_fma_f32 v75, v80, v51, -v2
	s_waitcnt lgkmcnt(0)
	v_mul_f32_e32 v2, v83, v52
	v_fmac_f32_e32 v18, 0x3e9e377a, v19
	v_fmac_f32_e32 v16, 0x3e9e377a, v19
	v_add_f32_e32 v19, v54, v23
	v_fmac_f32_e32 v65, v76, v44
	v_fma_f32 v76, v82, v53, -v2
	v_add_f32_e32 v2, v8, v54
	v_fma_f32 v8, -0.5, v19, v8
	v_mov_b32_e32 v20, v8
	v_add_f32_e32 v2, v2, v132
	v_fmac_f32_e32 v20, 0x3f737871, v17
	v_sub_f32_e32 v19, v132, v54
	v_sub_f32_e32 v21, v134, v23
	v_fmac_f32_e32 v8, 0xbf737871, v17
	v_add_f32_e32 v17, v133, v22
	v_add_f32_e32 v2, v2, v134
	v_fmac_f32_e32 v20, 0xbf167918, v3
	v_add_f32_e32 v19, v19, v21
	v_fmac_f32_e32 v8, 0x3f167918, v3
	v_fma_f32 v17, -0.5, v17, v9
	v_add_f32_e32 v2, v2, v23
	v_fmac_f32_e32 v20, 0x3e9e377a, v19
	v_fmac_f32_e32 v8, 0x3e9e377a, v19
	v_sub_f32_e32 v23, v54, v23
	v_mov_b32_e32 v19, v17
	v_fmac_f32_e32 v19, 0x3f737871, v23
	v_sub_f32_e32 v25, v132, v134
	v_sub_f32_e32 v21, v55, v133
	;; [unrolled: 1-line block ×3, first 2 shown]
	v_fmac_f32_e32 v17, 0xbf737871, v23
	v_fmac_f32_e32 v19, 0x3f167918, v25
	v_add_f32_e32 v21, v21, v26
	v_fmac_f32_e32 v17, 0xbf167918, v25
	v_fmac_f32_e32 v19, 0x3e9e377a, v21
	;; [unrolled: 1-line block ×3, first 2 shown]
	v_add_f32_e32 v21, v55, v24
	v_add_f32_e32 v3, v9, v55
	v_fma_f32 v9, -0.5, v21, v9
	v_mov_b32_e32 v21, v9
	v_add_f32_e32 v3, v3, v133
	v_fmac_f32_e32 v21, 0xbf737871, v25
	v_fmac_f32_e32 v9, 0x3f737871, v25
	v_add_f32_e32 v3, v3, v22
	v_fmac_f32_e32 v21, 0x3f167918, v23
	v_fmac_f32_e32 v9, 0xbf167918, v23
	v_add_f32_e32 v23, v29, v62
	v_add_f32_e32 v3, v3, v24
	v_sub_f32_e32 v26, v133, v55
	v_sub_f32_e32 v22, v22, v24
	v_fma_f32 v24, -0.5, v23, v10
	v_add_f32_e32 v22, v26, v22
	v_sub_f32_e32 v23, v60, v56
	v_mov_b32_e32 v26, v24
	v_fmac_f32_e32 v26, 0xbf737871, v23
	v_sub_f32_e32 v25, v61, v32
	v_sub_f32_e32 v27, v135, v29
	;; [unrolled: 1-line block ×3, first 2 shown]
	v_fmac_f32_e32 v24, 0x3f737871, v23
	v_fmac_f32_e32 v26, 0xbf167918, v25
	v_add_f32_e32 v27, v27, v28
	v_fmac_f32_e32 v24, 0x3f167918, v25
	v_fmac_f32_e32 v26, 0x3e9e377a, v27
	v_fmac_f32_e32 v24, 0x3e9e377a, v27
	v_add_f32_e32 v27, v135, v33
	v_fmac_f32_e32 v21, 0x3e9e377a, v22
	v_fmac_f32_e32 v9, 0x3e9e377a, v22
	v_add_f32_e32 v22, v10, v135
	v_fma_f32 v10, -0.5, v27, v10
	v_mov_b32_e32 v28, v10
	v_fmac_f32_e32 v28, 0x3f737871, v25
	v_sub_f32_e32 v27, v29, v135
	v_sub_f32_e32 v30, v62, v33
	v_fmac_f32_e32 v10, 0xbf737871, v25
	v_add_f32_e32 v25, v61, v32
	v_add_f32_e32 v22, v22, v29
	v_fmac_f32_e32 v28, 0xbf167918, v23
	v_add_f32_e32 v27, v27, v30
	v_fmac_f32_e32 v10, 0x3f167918, v23
	v_fma_f32 v25, -0.5, v25, v11
	v_add_f32_e32 v22, v22, v62
	v_fmac_f32_e32 v28, 0x3e9e377a, v27
	v_fmac_f32_e32 v10, 0x3e9e377a, v27
	v_sub_f32_e32 v30, v135, v33
	v_mov_b32_e32 v27, v25
	v_add_f32_e32 v22, v22, v33
	v_fmac_f32_e32 v27, 0x3f737871, v30
	v_sub_f32_e32 v31, v29, v62
	v_sub_f32_e32 v29, v60, v61
	;; [unrolled: 1-line block ×3, first 2 shown]
	v_fmac_f32_e32 v25, 0xbf737871, v30
	v_fmac_f32_e32 v27, 0x3f167918, v31
	v_add_f32_e32 v29, v29, v33
	v_fmac_f32_e32 v25, 0xbf167918, v31
	v_fmac_f32_e32 v27, 0x3e9e377a, v29
	;; [unrolled: 1-line block ×3, first 2 shown]
	v_add_f32_e32 v29, v60, v56
	v_add_f32_e32 v23, v11, v60
	v_fmac_f32_e32 v11, -0.5, v29
	v_add_f32_e32 v23, v23, v61
	v_mov_b32_e32 v29, v11
	v_add_f32_e32 v23, v23, v32
	v_fmac_f32_e32 v29, 0xbf737871, v31
	v_sub_f32_e32 v33, v61, v60
	v_sub_f32_e32 v32, v32, v56
	v_fmac_f32_e32 v11, 0x3f737871, v31
	v_fmac_f32_e32 v29, 0x3f167918, v30
	v_add_f32_e32 v32, v33, v32
	v_fmac_f32_e32 v11, 0xbf167918, v30
	v_add_f32_e32 v23, v23, v56
	v_fmac_f32_e32 v29, 0x3e9e377a, v32
	v_fmac_f32_e32 v11, 0x3e9e377a, v32
	s_waitcnt lgkmcnt(0)
	; wave barrier
	ds_write2_b64 v228, v[2:3], v[18:19] offset1:55
	ds_write2_b64 v228, v[20:21], v[8:9] offset0:110 offset1:165
	ds_write2_b64 v131, v[16:17], v[22:23] offset0:92 offset1:147
	;; [unrolled: 1-line block ×4, first 2 shown]
	buffer_load_dword v3, off, s[20:23], 0 offset:12 ; 4-byte Folded Reload
	v_fmac_f32_e32 v59, v70, v36
	v_add_f32_e32 v31, v59, v37
	v_fma_f32 v32, -0.5, v31, v4
	v_mul_f32_e32 v45, v79, v39
	v_sub_f32_e32 v31, v58, v40
	v_mov_b32_e32 v34, v32
	v_fmac_f32_e32 v45, v78, v38
	v_fmac_f32_e32 v34, 0xbf737871, v31
	v_sub_f32_e32 v33, v63, v64
	v_sub_f32_e32 v36, v57, v59
	;; [unrolled: 1-line block ×3, first 2 shown]
	v_fmac_f32_e32 v32, 0x3f737871, v31
	v_fmac_f32_e32 v34, 0xbf167918, v33
	v_add_f32_e32 v36, v36, v38
	v_fmac_f32_e32 v32, 0x3f167918, v33
	v_fmac_f32_e32 v34, 0x3e9e377a, v36
	;; [unrolled: 1-line block ×3, first 2 shown]
	v_add_f32_e32 v36, v57, v35
	v_add_f32_e32 v30, v4, v57
	v_fma_f32 v4, -0.5, v36, v4
	v_mov_b32_e32 v36, v4
	v_add_f32_e32 v30, v30, v59
	v_fmac_f32_e32 v36, 0x3f737871, v33
	v_sub_f32_e32 v38, v59, v57
	v_sub_f32_e32 v39, v37, v35
	v_fmac_f32_e32 v4, 0xbf737871, v33
	v_add_f32_e32 v33, v63, v64
	v_add_f32_e32 v30, v30, v37
	v_fmac_f32_e32 v36, 0xbf167918, v31
	v_add_f32_e32 v38, v38, v39
	v_fmac_f32_e32 v4, 0x3f167918, v31
	v_fma_f32 v33, -0.5, v33, v5
	v_add_f32_e32 v30, v30, v35
	v_fmac_f32_e32 v36, 0x3e9e377a, v38
	v_fmac_f32_e32 v4, 0x3e9e377a, v38
	v_sub_f32_e32 v38, v57, v35
	v_mov_b32_e32 v35, v33
	v_fmac_f32_e32 v35, 0x3f737871, v38
	v_sub_f32_e32 v39, v59, v37
	v_sub_f32_e32 v37, v58, v63
	;; [unrolled: 1-line block ×3, first 2 shown]
	v_fmac_f32_e32 v33, 0xbf737871, v38
	v_fmac_f32_e32 v35, 0x3f167918, v39
	v_add_f32_e32 v37, v37, v41
	v_fmac_f32_e32 v33, 0xbf167918, v39
	v_add_f32_e32 v31, v5, v58
	v_fmac_f32_e32 v35, 0x3e9e377a, v37
	v_fmac_f32_e32 v33, 0x3e9e377a, v37
	v_add_f32_e32 v37, v58, v40
	v_add_f32_e32 v31, v31, v63
	v_fma_f32 v5, -0.5, v37, v5
	v_add_f32_e32 v31, v31, v64
	v_mov_b32_e32 v37, v5
	v_add_f32_e32 v31, v31, v40
	v_fmac_f32_e32 v37, 0xbf737871, v39
	v_sub_f32_e32 v41, v63, v58
	v_sub_f32_e32 v40, v64, v40
	v_fmac_f32_e32 v5, 0x3f737871, v39
	v_fmac_f32_e32 v37, 0x3f167918, v38
	v_add_f32_e32 v40, v41, v40
	v_fmac_f32_e32 v5, 0xbf167918, v38
	v_fmac_f32_e32 v37, 0x3e9e377a, v40
	;; [unrolled: 1-line block ×3, first 2 shown]
	v_add_f32_e32 v39, v45, v68
	v_fma_f32 v40, -0.5, v39, v6
	v_fmac_f32_e32 v49, v74, v42
	v_sub_f32_e32 v39, v66, v69
	v_mov_b32_e32 v42, v40
	v_fmac_f32_e32 v42, 0xbf737871, v39
	v_sub_f32_e32 v41, v67, v48
	v_sub_f32_e32 v43, v65, v45
	;; [unrolled: 1-line block ×3, first 2 shown]
	v_fmac_f32_e32 v40, 0x3f737871, v39
	v_fmac_f32_e32 v42, 0xbf167918, v41
	v_add_f32_e32 v43, v43, v44
	v_fmac_f32_e32 v40, 0x3f167918, v41
	v_fmac_f32_e32 v42, 0x3e9e377a, v43
	;; [unrolled: 1-line block ×3, first 2 shown]
	v_add_f32_e32 v43, v65, v49
	s_waitcnt vmcnt(0)
	v_add_u32_e32 v2, 0x1000, v3
	ds_write2_b64 v2, v[30:31], v[34:35] offset0:38 offset1:93
	ds_write2_b64 v2, v[36:37], v[4:5] offset0:148 offset1:203
	ds_write_b64 v3, v[32:33] offset:6160
	buffer_load_dword v3, off, s[20:23], 0 offset:16 ; 4-byte Folded Reload
	v_add_f32_e32 v38, v6, v65
	v_fma_f32 v6, -0.5, v43, v6
	v_mul_f32_e32 v70, v85, v47
	v_mov_b32_e32 v44, v6
	v_fmac_f32_e32 v70, v84, v46
	v_fmac_f32_e32 v44, 0x3f737871, v41
	v_sub_f32_e32 v43, v45, v65
	v_sub_f32_e32 v46, v68, v49
	v_fmac_f32_e32 v6, 0xbf737871, v41
	v_add_f32_e32 v41, v67, v48
	v_add_f32_e32 v38, v38, v45
	v_fmac_f32_e32 v44, 0xbf167918, v39
	v_add_f32_e32 v43, v43, v46
	v_fmac_f32_e32 v6, 0x3f167918, v39
	v_fma_f32 v41, -0.5, v41, v7
	v_add_f32_e32 v38, v38, v68
	v_fmac_f32_e32 v44, 0x3e9e377a, v43
	v_fmac_f32_e32 v6, 0x3e9e377a, v43
	v_sub_f32_e32 v46, v65, v49
	v_mov_b32_e32 v43, v41
	v_add_f32_e32 v38, v38, v49
	v_fmac_f32_e32 v43, 0x3f737871, v46
	v_sub_f32_e32 v47, v45, v68
	v_sub_f32_e32 v45, v66, v67
	;; [unrolled: 1-line block ×3, first 2 shown]
	v_fmac_f32_e32 v41, 0xbf737871, v46
	v_fmac_f32_e32 v43, 0x3f167918, v47
	v_add_f32_e32 v45, v45, v49
	v_fmac_f32_e32 v41, 0xbf167918, v47
	v_fmac_f32_e32 v43, 0x3e9e377a, v45
	;; [unrolled: 1-line block ×3, first 2 shown]
	v_add_f32_e32 v45, v66, v69
	v_add_f32_e32 v39, v7, v66
	v_fmac_f32_e32 v7, -0.5, v45
	v_add_f32_e32 v39, v39, v67
	v_mov_b32_e32 v45, v7
	v_add_f32_e32 v39, v39, v48
	v_fmac_f32_e32 v45, 0xbf737871, v47
	v_sub_f32_e32 v49, v67, v66
	v_sub_f32_e32 v48, v48, v69
	v_fmac_f32_e32 v7, 0x3f737871, v47
	v_add_f32_e32 v39, v39, v69
	v_fmac_f32_e32 v45, 0x3f167918, v46
	v_add_f32_e32 v48, v49, v48
	v_fmac_f32_e32 v7, 0xbf167918, v46
	v_fmac_f32_e32 v45, 0x3e9e377a, v48
	v_fmac_f32_e32 v7, 0x3e9e377a, v48
	v_mul_f32_e32 v74, v81, v51
	v_fmac_f32_e32 v74, v80, v50
	v_add_f32_e32 v47, v72, v74
	v_mul_f32_e32 v51, v83, v53
	v_fma_f32 v48, -0.5, v47, v0
	v_fmac_f32_e32 v51, v82, v52
	v_sub_f32_e32 v47, v71, v76
	v_mov_b32_e32 v50, v48
	v_fmac_f32_e32 v50, 0xbf737871, v47
	v_sub_f32_e32 v49, v73, v75
	v_sub_f32_e32 v52, v70, v72
	;; [unrolled: 1-line block ×3, first 2 shown]
	v_fmac_f32_e32 v48, 0x3f737871, v47
	v_fmac_f32_e32 v50, 0xbf167918, v49
	v_add_f32_e32 v52, v52, v53
	v_fmac_f32_e32 v48, 0x3f167918, v49
	v_fmac_f32_e32 v50, 0x3e9e377a, v52
	;; [unrolled: 1-line block ×3, first 2 shown]
	v_add_f32_e32 v52, v70, v51
	v_add_f32_e32 v46, v0, v70
	v_fma_f32 v0, -0.5, v52, v0
	v_mov_b32_e32 v52, v0
	v_add_f32_e32 v46, v46, v72
	v_fmac_f32_e32 v52, 0x3f737871, v49
	v_fmac_f32_e32 v0, 0xbf737871, v49
	v_add_f32_e32 v49, v73, v75
	v_add_f32_e32 v46, v46, v74
	v_sub_f32_e32 v53, v72, v70
	v_sub_f32_e32 v54, v74, v51
	v_fma_f32 v49, -0.5, v49, v1
	v_add_f32_e32 v46, v46, v51
	v_fmac_f32_e32 v52, 0xbf167918, v47
	s_waitcnt vmcnt(0)
	v_add_u32_e32 v2, 0x1800, v3
	ds_write2_b64 v2, v[38:39], v[42:43] offset0:57 offset1:112
	ds_write2_b64 v2, v[44:45], v[6:7] offset0:167 offset1:222
	ds_write_b64 v3, v[40:41] offset:8360
	buffer_load_dword v3, off, s[20:23], 0 offset:20 ; 4-byte Folded Reload
	v_add_f32_e32 v53, v53, v54
	v_fmac_f32_e32 v0, 0x3f167918, v47
	v_sub_f32_e32 v54, v70, v51
	v_mov_b32_e32 v51, v49
	v_fmac_f32_e32 v52, 0x3e9e377a, v53
	v_fmac_f32_e32 v0, 0x3e9e377a, v53
	;; [unrolled: 1-line block ×3, first 2 shown]
	v_sub_f32_e32 v55, v72, v74
	v_sub_f32_e32 v53, v71, v73
	;; [unrolled: 1-line block ×3, first 2 shown]
	v_fmac_f32_e32 v49, 0xbf737871, v54
	v_fmac_f32_e32 v51, 0x3f167918, v55
	v_add_f32_e32 v53, v53, v56
	v_fmac_f32_e32 v49, 0xbf167918, v55
	v_fmac_f32_e32 v51, 0x3e9e377a, v53
	v_fmac_f32_e32 v49, 0x3e9e377a, v53
	v_add_f32_e32 v53, v71, v76
	v_add_f32_e32 v47, v1, v71
	v_fmac_f32_e32 v1, -0.5, v53
	v_mov_b32_e32 v53, v1
	v_add_f32_e32 v47, v47, v73
	v_fmac_f32_e32 v53, 0xbf737871, v55
	v_sub_f32_e32 v56, v73, v71
	v_sub_f32_e32 v57, v75, v76
	v_fmac_f32_e32 v1, 0x3f737871, v55
	v_add_f32_e32 v47, v47, v75
	v_fmac_f32_e32 v53, 0x3f167918, v54
	v_add_f32_e32 v56, v56, v57
	;; [unrolled: 2-line block ×3, first 2 shown]
	v_fmac_f32_e32 v53, 0x3e9e377a, v56
	v_fmac_f32_e32 v1, 0x3e9e377a, v56
	s_waitcnt vmcnt(0)
	v_add_u32_e32 v2, 0x2000, v3
	ds_write2_b64 v2, v[46:47], v[50:51] offset0:76 offset1:131
	ds_write2_b64 v2, v[52:53], v[0:1] offset0:186 offset1:241
	ds_write_b64 v3, v[48:49] offset:10560
	s_waitcnt lgkmcnt(0)
	; wave barrier
	s_waitcnt lgkmcnt(0)
	ds_read2_b64 v[8:11], v228 offset1:55
	ds_read2_b64 v[0:3], v131 offset0:92 offset1:147
	ds_read2_b64 v[16:19], v128 offset0:38 offset1:93
	;; [unrolled: 1-line block ×11, first 2 shown]
	ds_read_b64 v[52:53], v228 offset:10560
	s_waitcnt lgkmcnt(11)
	v_mul_f32_e32 v54, v93, v3
	v_fmac_f32_e32 v54, v92, v2
	v_mul_f32_e32 v2, v93, v2
	v_fma_f32 v55, v92, v3, -v2
	s_waitcnt lgkmcnt(10)
	v_mul_f32_e32 v2, v95, v16
	v_fma_f32 v57, v94, v17, -v2
	s_waitcnt lgkmcnt(9)
	v_mul_f32_e32 v58, v89, v23
	v_mul_f32_e32 v2, v89, v22
	v_fmac_f32_e32 v58, v88, v22
	v_fma_f32 v22, v88, v23, -v2
	s_waitcnt lgkmcnt(8)
	v_mul_f32_e32 v23, v91, v25
	v_mul_f32_e32 v2, v91, v24
	v_fmac_f32_e32 v23, v90, v24
	v_fma_f32 v24, v90, v25, -v2
	s_waitcnt lgkmcnt(7)
	v_mul_f32_e32 v2, v101, v28
	v_fma_f32 v60, v100, v29, -v2
	v_mul_f32_e32 v2, v103, v18
	v_fma_f32 v61, v102, v19, -v2
	s_waitcnt lgkmcnt(6)
	v_mul_f32_e32 v62, v97, v33
	v_mul_f32_e32 v2, v97, v32
	v_fmac_f32_e32 v62, v96, v32
	v_fma_f32 v32, v96, v33, -v2
	v_mul_f32_e32 v2, v99, v26
	v_fma_f32 v63, v98, v27, -v2
	v_mul_f32_e32 v2, v109, v30
	v_fma_f32 v65, v108, v31, -v2
	s_waitcnt lgkmcnt(4)
	v_mul_f32_e32 v2, v111, v36
	v_fma_f32 v67, v110, v37, -v2
	v_mul_f32_e32 v2, v105, v34
	v_mul_f32_e32 v66, v111, v37
	;; [unrolled: 1-line block ×3, first 2 shown]
	v_fma_f32 v68, v104, v35, -v2
	s_waitcnt lgkmcnt(3)
	v_mul_f32_e32 v35, v107, v41
	v_mul_f32_e32 v2, v107, v40
	;; [unrolled: 1-line block ×3, first 2 shown]
	v_fmac_f32_e32 v35, v106, v40
	v_fma_f32 v40, v106, v41, -v2
	s_waitcnt lgkmcnt(2)
	v_mul_f32_e32 v2, v117, v44
	v_fmac_f32_e32 v56, v94, v16
	v_fma_f32 v70, v116, v45, -v2
	v_mul_f32_e32 v2, v119, v38
	v_fma_f32 v71, v118, v39, -v2
	s_waitcnt lgkmcnt(1)
	v_mul_f32_e32 v72, v113, v49
	v_mul_f32_e32 v2, v113, v48
	v_add_f32_e32 v3, v56, v58
	v_mul_f32_e32 v59, v101, v29
	v_mul_f32_e32 v29, v103, v19
	v_fmac_f32_e32 v72, v112, v48
	v_fma_f32 v48, v112, v49, -v2
	v_mul_f32_e32 v2, v115, v42
	v_fma_f32 v16, -0.5, v3, v8
	v_fmac_f32_e32 v29, v102, v18
	v_fma_f32 v73, v114, v43, -v2
	v_mul_f32_e32 v2, v125, v46
	v_mul_f32_e32 v76, v127, v21
	v_sub_f32_e32 v3, v55, v24
	v_mov_b32_e32 v18, v16
	v_fma_f32 v75, v124, v47, -v2
	v_fmac_f32_e32 v76, v126, v20
	v_mul_f32_e32 v2, v127, v20
	v_fmac_f32_e32 v18, 0xbf737871, v3
	v_sub_f32_e32 v17, v57, v22
	v_sub_f32_e32 v19, v54, v56
	;; [unrolled: 1-line block ×3, first 2 shown]
	v_fmac_f32_e32 v16, 0x3f737871, v3
	v_fma_f32 v77, v126, v21, -v2
	v_mul_f32_e32 v2, v121, v50
	v_fmac_f32_e32 v18, 0xbf167918, v17
	v_add_f32_e32 v19, v19, v20
	v_fmac_f32_e32 v16, 0x3f167918, v17
	v_fma_f32 v79, v120, v51, -v2
	s_waitcnt lgkmcnt(0)
	v_mul_f32_e32 v2, v123, v52
	v_fmac_f32_e32 v18, 0x3e9e377a, v19
	v_fmac_f32_e32 v16, 0x3e9e377a, v19
	v_add_f32_e32 v19, v54, v23
	v_fma_f32 v80, v122, v53, -v2
	v_add_f32_e32 v2, v8, v54
	v_fma_f32 v8, -0.5, v19, v8
	v_mov_b32_e32 v20, v8
	v_add_f32_e32 v2, v2, v56
	v_fmac_f32_e32 v20, 0x3f737871, v17
	v_sub_f32_e32 v19, v56, v54
	v_sub_f32_e32 v21, v58, v23
	v_fmac_f32_e32 v8, 0xbf737871, v17
	v_add_f32_e32 v17, v57, v22
	v_add_f32_e32 v2, v2, v58
	v_fmac_f32_e32 v20, 0xbf167918, v3
	v_add_f32_e32 v19, v19, v21
	v_fmac_f32_e32 v8, 0x3f167918, v3
	v_fma_f32 v17, -0.5, v17, v9
	v_mul_f32_e32 v33, v99, v27
	v_add_f32_e32 v2, v2, v23
	v_fmac_f32_e32 v20, 0x3e9e377a, v19
	v_fmac_f32_e32 v8, 0x3e9e377a, v19
	v_sub_f32_e32 v23, v54, v23
	v_mov_b32_e32 v19, v17
	v_fmac_f32_e32 v33, v98, v26
	v_fmac_f32_e32 v19, 0x3f737871, v23
	v_sub_f32_e32 v25, v56, v58
	v_sub_f32_e32 v21, v55, v57
	;; [unrolled: 1-line block ×3, first 2 shown]
	v_fmac_f32_e32 v17, 0xbf737871, v23
	v_fmac_f32_e32 v19, 0x3f167918, v25
	v_add_f32_e32 v21, v21, v26
	v_fmac_f32_e32 v17, 0xbf167918, v25
	v_fmac_f32_e32 v19, 0x3e9e377a, v21
	;; [unrolled: 1-line block ×3, first 2 shown]
	v_add_f32_e32 v21, v55, v24
	v_add_f32_e32 v3, v9, v55
	v_fma_f32 v9, -0.5, v21, v9
	v_mov_b32_e32 v21, v9
	v_add_f32_e32 v3, v3, v57
	v_fmac_f32_e32 v21, 0xbf737871, v25
	v_fmac_f32_e32 v9, 0x3f737871, v25
	v_add_f32_e32 v3, v3, v22
	v_fmac_f32_e32 v21, 0x3f167918, v23
	v_fmac_f32_e32 v9, 0xbf167918, v23
	v_add_f32_e32 v23, v29, v62
	v_add_f32_e32 v3, v3, v24
	v_sub_f32_e32 v26, v57, v55
	v_sub_f32_e32 v22, v22, v24
	v_fma_f32 v24, -0.5, v23, v10
	v_fmac_f32_e32 v59, v100, v28
	v_add_f32_e32 v22, v26, v22
	v_sub_f32_e32 v23, v60, v63
	v_mov_b32_e32 v26, v24
	v_fmac_f32_e32 v26, 0xbf737871, v23
	v_sub_f32_e32 v25, v61, v32
	v_sub_f32_e32 v27, v59, v29
	;; [unrolled: 1-line block ×3, first 2 shown]
	v_fmac_f32_e32 v24, 0x3f737871, v23
	v_fmac_f32_e32 v26, 0xbf167918, v25
	v_add_f32_e32 v27, v27, v28
	v_fmac_f32_e32 v24, 0x3f167918, v25
	v_fmac_f32_e32 v26, 0x3e9e377a, v27
	;; [unrolled: 1-line block ×3, first 2 shown]
	v_add_f32_e32 v27, v59, v33
	v_fmac_f32_e32 v21, 0x3e9e377a, v22
	v_fmac_f32_e32 v9, 0x3e9e377a, v22
	v_add_f32_e32 v22, v10, v59
	v_fma_f32 v10, -0.5, v27, v10
	v_mul_f32_e32 v64, v109, v31
	v_mov_b32_e32 v28, v10
	v_fmac_f32_e32 v64, v108, v30
	v_fmac_f32_e32 v28, 0x3f737871, v25
	v_sub_f32_e32 v27, v29, v59
	v_sub_f32_e32 v30, v62, v33
	v_fmac_f32_e32 v10, 0xbf737871, v25
	v_add_f32_e32 v25, v61, v32
	v_add_f32_e32 v22, v22, v29
	v_fmac_f32_e32 v28, 0xbf167918, v23
	v_add_f32_e32 v27, v27, v30
	v_fmac_f32_e32 v10, 0x3f167918, v23
	v_fma_f32 v25, -0.5, v25, v11
	v_add_f32_e32 v22, v22, v62
	v_fmac_f32_e32 v28, 0x3e9e377a, v27
	v_fmac_f32_e32 v10, 0x3e9e377a, v27
	v_sub_f32_e32 v30, v59, v33
	v_mov_b32_e32 v27, v25
	v_add_f32_e32 v22, v22, v33
	v_fmac_f32_e32 v27, 0x3f737871, v30
	v_sub_f32_e32 v31, v29, v62
	v_sub_f32_e32 v29, v60, v61
	;; [unrolled: 1-line block ×3, first 2 shown]
	v_fmac_f32_e32 v25, 0xbf737871, v30
	v_fmac_f32_e32 v27, 0x3f167918, v31
	v_add_f32_e32 v29, v29, v33
	v_fmac_f32_e32 v25, 0xbf167918, v31
	v_fmac_f32_e32 v27, 0x3e9e377a, v29
	;; [unrolled: 1-line block ×3, first 2 shown]
	v_add_f32_e32 v29, v60, v63
	v_add_f32_e32 v23, v11, v60
	v_fmac_f32_e32 v11, -0.5, v29
	v_add_f32_e32 v23, v23, v61
	v_mov_b32_e32 v29, v11
	v_fmac_f32_e32 v66, v110, v36
	v_fmac_f32_e32 v37, v104, v34
	v_add_f32_e32 v23, v23, v32
	v_fmac_f32_e32 v29, 0xbf737871, v31
	v_sub_f32_e32 v33, v61, v60
	v_sub_f32_e32 v32, v32, v63
	v_fmac_f32_e32 v11, 0x3f737871, v31
	v_fmac_f32_e32 v29, 0x3f167918, v30
	v_add_f32_e32 v32, v33, v32
	v_fmac_f32_e32 v11, 0xbf167918, v30
	v_add_f32_e32 v31, v66, v37
	v_fmac_f32_e32 v29, 0x3e9e377a, v32
	v_fmac_f32_e32 v11, 0x3e9e377a, v32
	v_fma_f32 v32, -0.5, v31, v4
	v_mul_f32_e32 v69, v117, v45
	v_mul_f32_e32 v45, v119, v39
	v_sub_f32_e32 v31, v65, v40
	v_mov_b32_e32 v34, v32
	v_fmac_f32_e32 v45, v118, v38
	v_fmac_f32_e32 v34, 0xbf737871, v31
	v_sub_f32_e32 v33, v67, v68
	v_sub_f32_e32 v36, v64, v66
	;; [unrolled: 1-line block ×3, first 2 shown]
	v_fmac_f32_e32 v32, 0x3f737871, v31
	v_fmac_f32_e32 v34, 0xbf167918, v33
	v_add_f32_e32 v36, v36, v38
	v_fmac_f32_e32 v32, 0x3f167918, v33
	v_fmac_f32_e32 v34, 0x3e9e377a, v36
	;; [unrolled: 1-line block ×3, first 2 shown]
	v_add_f32_e32 v36, v64, v35
	v_add_f32_e32 v30, v4, v64
	v_fma_f32 v4, -0.5, v36, v4
	v_mov_b32_e32 v36, v4
	v_add_f32_e32 v30, v30, v66
	v_fmac_f32_e32 v36, 0x3f737871, v33
	v_sub_f32_e32 v38, v66, v64
	v_sub_f32_e32 v39, v37, v35
	v_fmac_f32_e32 v4, 0xbf737871, v33
	v_add_f32_e32 v33, v67, v68
	v_add_f32_e32 v30, v30, v37
	v_fmac_f32_e32 v36, 0xbf167918, v31
	v_add_f32_e32 v38, v38, v39
	v_fmac_f32_e32 v4, 0x3f167918, v31
	v_fma_f32 v33, -0.5, v33, v5
	v_add_f32_e32 v30, v30, v35
	v_fmac_f32_e32 v36, 0x3e9e377a, v38
	v_fmac_f32_e32 v4, 0x3e9e377a, v38
	v_sub_f32_e32 v38, v64, v35
	v_mov_b32_e32 v35, v33
	v_fmac_f32_e32 v35, 0x3f737871, v38
	v_sub_f32_e32 v39, v66, v37
	v_sub_f32_e32 v37, v65, v67
	v_sub_f32_e32 v41, v40, v68
	v_fmac_f32_e32 v33, 0xbf737871, v38
	v_fmac_f32_e32 v35, 0x3f167918, v39
	v_add_f32_e32 v37, v37, v41
	v_fmac_f32_e32 v33, 0xbf167918, v39
	v_add_f32_e32 v31, v5, v65
	v_fmac_f32_e32 v35, 0x3e9e377a, v37
	v_fmac_f32_e32 v33, 0x3e9e377a, v37
	v_add_f32_e32 v37, v65, v40
	v_add_f32_e32 v31, v31, v67
	v_fma_f32 v5, -0.5, v37, v5
	v_add_f32_e32 v31, v31, v68
	v_mov_b32_e32 v37, v5
	v_add_f32_e32 v31, v31, v40
	v_fmac_f32_e32 v37, 0xbf737871, v39
	v_sub_f32_e32 v41, v67, v65
	v_sub_f32_e32 v40, v68, v40
	v_fmac_f32_e32 v5, 0x3f737871, v39
	v_fmac_f32_e32 v37, 0x3f167918, v38
	v_add_f32_e32 v40, v41, v40
	v_fmac_f32_e32 v5, 0xbf167918, v38
	v_add_f32_e32 v39, v45, v72
	v_mul_f32_e32 v49, v115, v43
	v_fmac_f32_e32 v37, 0x3e9e377a, v40
	v_fmac_f32_e32 v5, 0x3e9e377a, v40
	v_fma_f32 v40, -0.5, v39, v6
	v_fmac_f32_e32 v69, v116, v44
	v_fmac_f32_e32 v49, v114, v42
	v_sub_f32_e32 v39, v70, v73
	v_mov_b32_e32 v42, v40
	v_fmac_f32_e32 v42, 0xbf737871, v39
	v_sub_f32_e32 v41, v71, v48
	v_sub_f32_e32 v43, v69, v45
	v_sub_f32_e32 v44, v49, v72
	v_fmac_f32_e32 v40, 0x3f737871, v39
	v_fmac_f32_e32 v42, 0xbf167918, v41
	v_add_f32_e32 v43, v43, v44
	v_fmac_f32_e32 v40, 0x3f167918, v41
	v_fmac_f32_e32 v42, 0x3e9e377a, v43
	;; [unrolled: 1-line block ×3, first 2 shown]
	v_add_f32_e32 v43, v69, v49
	v_add_f32_e32 v38, v6, v69
	v_fma_f32 v6, -0.5, v43, v6
	v_mul_f32_e32 v74, v125, v47
	v_mov_b32_e32 v44, v6
	v_fmac_f32_e32 v74, v124, v46
	v_fmac_f32_e32 v44, 0x3f737871, v41
	v_sub_f32_e32 v43, v45, v69
	v_sub_f32_e32 v46, v72, v49
	v_fmac_f32_e32 v6, 0xbf737871, v41
	v_add_f32_e32 v41, v71, v48
	v_add_f32_e32 v38, v38, v45
	v_fmac_f32_e32 v44, 0xbf167918, v39
	v_add_f32_e32 v43, v43, v46
	v_fmac_f32_e32 v6, 0x3f167918, v39
	v_fma_f32 v41, -0.5, v41, v7
	v_add_f32_e32 v38, v38, v72
	v_fmac_f32_e32 v44, 0x3e9e377a, v43
	v_fmac_f32_e32 v6, 0x3e9e377a, v43
	v_sub_f32_e32 v46, v69, v49
	v_mov_b32_e32 v43, v41
	v_add_f32_e32 v38, v38, v49
	v_fmac_f32_e32 v43, 0x3f737871, v46
	v_sub_f32_e32 v47, v45, v72
	v_sub_f32_e32 v45, v70, v71
	;; [unrolled: 1-line block ×3, first 2 shown]
	v_fmac_f32_e32 v41, 0xbf737871, v46
	v_fmac_f32_e32 v43, 0x3f167918, v47
	v_add_f32_e32 v45, v45, v49
	v_fmac_f32_e32 v41, 0xbf167918, v47
	v_fmac_f32_e32 v43, 0x3e9e377a, v45
	;; [unrolled: 1-line block ×3, first 2 shown]
	v_add_f32_e32 v45, v70, v73
	v_add_f32_e32 v39, v7, v70
	v_fmac_f32_e32 v7, -0.5, v45
	v_mul_f32_e32 v78, v121, v51
	v_add_f32_e32 v39, v39, v71
	v_mov_b32_e32 v45, v7
	v_fmac_f32_e32 v78, v120, v50
	v_add_f32_e32 v39, v39, v48
	v_fmac_f32_e32 v45, 0xbf737871, v47
	v_sub_f32_e32 v49, v71, v70
	v_sub_f32_e32 v48, v48, v73
	v_fmac_f32_e32 v7, 0x3f737871, v47
	v_fmac_f32_e32 v45, 0x3f167918, v46
	v_add_f32_e32 v48, v49, v48
	v_fmac_f32_e32 v7, 0xbf167918, v46
	v_add_f32_e32 v47, v76, v78
	v_mul_f32_e32 v51, v123, v53
	v_fmac_f32_e32 v45, 0x3e9e377a, v48
	v_fmac_f32_e32 v7, 0x3e9e377a, v48
	v_fma_f32 v48, -0.5, v47, v0
	v_fmac_f32_e32 v51, v122, v52
	v_sub_f32_e32 v47, v75, v80
	v_mov_b32_e32 v50, v48
	v_fmac_f32_e32 v50, 0xbf737871, v47
	v_sub_f32_e32 v49, v77, v79
	v_sub_f32_e32 v52, v74, v76
	;; [unrolled: 1-line block ×3, first 2 shown]
	v_fmac_f32_e32 v48, 0x3f737871, v47
	v_fmac_f32_e32 v50, 0xbf167918, v49
	v_add_f32_e32 v52, v52, v53
	v_fmac_f32_e32 v48, 0x3f167918, v49
	v_fmac_f32_e32 v50, 0x3e9e377a, v52
	;; [unrolled: 1-line block ×3, first 2 shown]
	v_add_f32_e32 v52, v74, v51
	v_add_f32_e32 v46, v0, v74
	v_fma_f32 v0, -0.5, v52, v0
	v_mov_b32_e32 v52, v0
	v_add_f32_e32 v46, v46, v76
	v_fmac_f32_e32 v52, 0x3f737871, v49
	v_fmac_f32_e32 v0, 0xbf737871, v49
	v_add_f32_e32 v49, v77, v79
	v_add_f32_e32 v46, v46, v78
	v_sub_f32_e32 v53, v76, v74
	v_sub_f32_e32 v54, v78, v51
	v_fma_f32 v49, -0.5, v49, v1
	v_add_f32_e32 v46, v46, v51
	v_fmac_f32_e32 v52, 0xbf167918, v47
	v_add_f32_e32 v53, v53, v54
	v_fmac_f32_e32 v0, 0x3f167918, v47
	v_sub_f32_e32 v54, v74, v51
	v_mov_b32_e32 v51, v49
	v_fmac_f32_e32 v52, 0x3e9e377a, v53
	v_fmac_f32_e32 v0, 0x3e9e377a, v53
	;; [unrolled: 1-line block ×3, first 2 shown]
	v_sub_f32_e32 v55, v76, v78
	v_sub_f32_e32 v53, v75, v77
	;; [unrolled: 1-line block ×3, first 2 shown]
	v_fmac_f32_e32 v49, 0xbf737871, v54
	v_fmac_f32_e32 v51, 0x3f167918, v55
	v_add_f32_e32 v53, v53, v56
	v_fmac_f32_e32 v49, 0xbf167918, v55
	v_fmac_f32_e32 v51, 0x3e9e377a, v53
	;; [unrolled: 1-line block ×3, first 2 shown]
	v_add_f32_e32 v53, v75, v80
	v_add_f32_e32 v47, v1, v75
	v_fmac_f32_e32 v1, -0.5, v53
	v_mov_b32_e32 v53, v1
	v_add_f32_e32 v47, v47, v77
	v_fmac_f32_e32 v53, 0xbf737871, v55
	v_sub_f32_e32 v56, v77, v75
	v_sub_f32_e32 v57, v79, v80
	v_add_f32_e32 v47, v47, v79
	v_fmac_f32_e32 v53, 0x3f167918, v54
	v_add_f32_e32 v56, v56, v57
	v_fmac_f32_e32 v1, 0x3f737871, v55
	v_add_f32_e32 v23, v23, v63
	v_add_f32_e32 v39, v39, v73
	;; [unrolled: 1-line block ×3, first 2 shown]
	v_fmac_f32_e32 v53, 0x3e9e377a, v56
	v_fmac_f32_e32 v1, 0xbf167918, v54
	ds_write_b64 v228, v[18:19] offset:2200
	ds_write_b64 v228, v[20:21] offset:4400
	;; [unrolled: 1-line block ×4, first 2 shown]
	ds_write2_b64 v228, v[2:3], v[22:23] offset1:55
	ds_write2_b64 v129, v[26:27], v[34:35] offset0:74 offset1:129
	ds_write2_b64 v128, v[28:29], v[36:37] offset0:93 offset1:148
	;; [unrolled: 1-line block ×5, first 2 shown]
	ds_write_b64 v228, v[46:47] offset:1760
	ds_write2_b64 v129, v[42:43], v[50:51] offset0:184 offset1:239
	v_add_u32_e32 v28, 0x1400, v228
	v_fmac_f32_e32 v1, 0x3e9e377a, v56
	ds_write2_b64 v28, v[44:45], v[52:53] offset0:75 offset1:130
	ds_write2_b64 v130, v[6:7], v[0:1] offset0:94 offset1:149
	v_add_u32_e32 v44, 0x2400, v228
	ds_write2_b64 v44, v[40:41], v[48:49] offset0:113 offset1:168
	s_waitcnt lgkmcnt(0)
	; wave barrier
	s_waitcnt lgkmcnt(0)
	ds_read2_b64 v[2:5], v228 offset1:55
	v_mad_u64_u32 v[10:11], s[0:1], s8, v227, 0
	ds_read2_b64 v[28:31], v28 offset0:110 offset1:165
	ds_read2_b64 v[32:35], v15 offset0:107 offset1:162
	s_waitcnt lgkmcnt(2)
	v_mul_f32_e32 v0, v213, v3
	v_fmac_f32_e32 v0, v212, v2
	v_mul_f32_e32 v2, v213, v2
	v_fma_f32 v2, v212, v3, -v2
	v_cvt_f64_f32_e32 v[0:1], v0
	v_cvt_f64_f32_e32 v[2:3], v2
	v_mov_b32_e32 v6, v11
	v_mad_u64_u32 v[16:17], s[0:1], s9, v227, v[6:7]
	v_mul_f64 v[0:1], v[0:1], s[2:3]
	v_mul_f64 v[2:3], v[2:3], s[2:3]
	ds_read2_b64 v[6:9], v228 offset0:125 offset1:180
	v_mov_b32_e32 v11, v16
	v_mov_b32_e32 v16, s15
	v_lshlrev_b64 v[10:11], 3, v[10:11]
	ds_read2_b64 v[36:39], v130 offset0:104 offset1:159
	ds_read2_b64 v[40:43], v14 offset0:101 offset1:156
	v_cvt_f32_f64_e32 v0, v[0:1]
	v_cvt_f32_f64_e32 v1, v[2:3]
	v_lshlrev_b64 v[2:3], 3, v[12:13]
	s_waitcnt lgkmcnt(2)
	v_mul_f32_e32 v12, v211, v7
	v_fmac_f32_e32 v12, v210, v6
	v_cvt_f64_f32_e32 v[12:13], v12
	v_mul_f32_e32 v6, v211, v6
	v_fma_f32 v6, v210, v7, -v6
	v_cvt_f64_f32_e32 v[6:7], v6
	v_mul_f64 v[12:13], v[12:13], s[2:3]
	v_add_co_u32_e64 v2, s[0:1], s14, v2
	v_addc_co_u32_e64 v3, s[0:1], v16, v3, s[0:1]
	v_mul_f64 v[6:7], v[6:7], s[2:3]
	v_add_co_u32_e64 v20, s[0:1], v2, v10
	v_addc_co_u32_e64 v21, s[0:1], v3, v11, s[0:1]
	global_store_dwordx2 v[20:21], v[0:1], off
	v_cvt_f32_f64_e32 v0, v[12:13]
	ds_read2_b64 v[10:13], v131 offset0:122 offset1:177
	v_cvt_f32_f64_e32 v1, v[6:7]
	s_mul_i32 s0, s9, 0x7d
	s_mul_hi_u32 s1, s8, 0x7d
	s_add_i32 s1, s1, s0
	s_waitcnt lgkmcnt(0)
	v_mul_f32_e32 v6, v209, v11
	v_fmac_f32_e32 v6, v208, v10
	v_mul_f32_e32 v10, v209, v10
	v_fma_f32 v10, v208, v11, -v10
	s_mul_i32 s0, s8, 0x7d
	v_cvt_f64_f32_e32 v[6:7], v6
	v_cvt_f64_f32_e32 v[10:11], v10
	ds_read2_b64 v[16:19], v129 offset0:119 offset1:174
	s_lshl_b64 s[4:5], s[0:1], 3
	v_mov_b32_e32 v48, s5
	v_add_co_u32_e64 v24, s[0:1], s4, v20
	v_addc_co_u32_e64 v25, s[0:1], v21, v48, s[0:1]
	global_store_dwordx2 v[24:25], v[0:1], off
	v_mul_f64 v[0:1], v[6:7], s[2:3]
	v_mul_f64 v[6:7], v[10:11], s[2:3]
	s_waitcnt lgkmcnt(0)
	v_mul_f32_e32 v10, v207, v17
	v_fmac_f32_e32 v10, v206, v16
	v_mul_f32_e32 v16, v207, v16
	v_fma_f32 v16, v206, v17, -v16
	v_cvt_f64_f32_e32 v[10:11], v10
	v_cvt_f64_f32_e32 v[16:17], v16
	v_cvt_f32_f64_e32 v0, v[0:1]
	v_cvt_f32_f64_e32 v1, v[6:7]
	v_mul_f64 v[6:7], v[10:11], s[2:3]
	v_mul_f64 v[10:11], v[16:17], s[2:3]
	v_add_u32_e32 v16, 0xc00, v228
	ds_read2_b64 v[20:23], v16 offset0:116 offset1:171
	v_add_co_u32_e64 v16, s[0:1], s4, v24
	v_addc_co_u32_e64 v17, s[0:1], v25, v48, s[0:1]
	global_store_dwordx2 v[16:17], v[0:1], off
	v_cvt_f32_f64_e32 v0, v[6:7]
	v_cvt_f32_f64_e32 v1, v[10:11]
	s_waitcnt lgkmcnt(0)
	v_mul_f32_e32 v6, v205, v21
	v_mul_f32_e32 v10, v205, v20
	v_fmac_f32_e32 v6, v204, v20
	v_fma_f32 v10, v204, v21, -v10
	v_cvt_f64_f32_e32 v[6:7], v6
	v_cvt_f64_f32_e32 v[10:11], v10
	ds_read2_b64 v[24:27], v128 offset0:113 offset1:168
	v_add_co_u32_e64 v16, s[0:1], s4, v16
	v_addc_co_u32_e64 v17, s[0:1], v17, v48, s[0:1]
	global_store_dwordx2 v[16:17], v[0:1], off
	v_mul_f64 v[0:1], v[6:7], s[2:3]
	v_mul_f64 v[6:7], v[10:11], s[2:3]
	s_waitcnt lgkmcnt(0)
	v_mul_f32_e32 v10, v203, v25
	v_mul_f32_e32 v20, v203, v24
	v_fmac_f32_e32 v10, v202, v24
	v_fma_f32 v20, v202, v25, -v20
	v_cvt_f64_f32_e32 v[10:11], v10
	v_cvt_f64_f32_e32 v[20:21], v20
	v_cvt_f32_f64_e32 v0, v[0:1]
	v_cvt_f32_f64_e32 v1, v[6:7]
	v_mul_f64 v[6:7], v[10:11], s[2:3]
	v_mul_f64 v[10:11], v[20:21], s[2:3]
	v_add_co_u32_e64 v16, s[0:1], s4, v16
	v_addc_co_u32_e64 v17, s[0:1], v17, v48, s[0:1]
	global_store_dwordx2 v[16:17], v[0:1], off
	v_add_co_u32_e64 v16, s[0:1], s4, v16
	v_cvt_f32_f64_e32 v0, v[6:7]
	v_cvt_f32_f64_e32 v1, v[10:11]
	v_mul_f32_e32 v6, v219, v29
	v_mul_f32_e32 v10, v219, v28
	v_fmac_f32_e32 v6, v218, v28
	v_fma_f32 v10, v218, v29, -v10
	v_cvt_f64_f32_e32 v[6:7], v6
	v_cvt_f64_f32_e32 v[10:11], v10
	v_addc_co_u32_e64 v17, s[0:1], v17, v48, s[0:1]
	global_store_dwordx2 v[16:17], v[0:1], off
	v_mul_f64 v[0:1], v[6:7], s[2:3]
	v_mul_f64 v[6:7], v[10:11], s[2:3]
	v_mul_f32_e32 v10, v223, v33
	v_mul_f32_e32 v20, v223, v32
	v_fmac_f32_e32 v10, v222, v32
	v_fma_f32 v20, v222, v33, -v20
	v_cvt_f64_f32_e32 v[10:11], v10
	v_cvt_f64_f32_e32 v[20:21], v20
	v_cvt_f32_f64_e32 v0, v[0:1]
	v_cvt_f32_f64_e32 v1, v[6:7]
	v_mul_f64 v[6:7], v[10:11], s[2:3]
	v_mul_f64 v[10:11], v[20:21], s[2:3]
	v_add_co_u32_e64 v16, s[0:1], s4, v16
	v_addc_co_u32_e64 v17, s[0:1], v17, v48, s[0:1]
	global_store_dwordx2 v[16:17], v[0:1], off
	v_add_co_u32_e64 v16, s[0:1], s4, v16
	v_cvt_f32_f64_e32 v0, v[6:7]
	v_cvt_f32_f64_e32 v1, v[10:11]
	v_mul_f32_e32 v6, v221, v37
	v_mul_f32_e32 v10, v221, v36
	v_fmac_f32_e32 v6, v220, v36
	v_fma_f32 v10, v220, v37, -v10
	v_cvt_f64_f32_e32 v[6:7], v6
	v_cvt_f64_f32_e32 v[10:11], v10
	v_addc_co_u32_e64 v17, s[0:1], v17, v48, s[0:1]
	global_store_dwordx2 v[16:17], v[0:1], off
	v_mul_f64 v[0:1], v[6:7], s[2:3]
	v_mul_f64 v[6:7], v[10:11], s[2:3]
	v_mul_f32_e32 v10, v217, v41
	v_mul_f32_e32 v20, v217, v40
	v_fmac_f32_e32 v10, v216, v40
	v_fma_f32 v20, v216, v41, -v20
	v_cvt_f64_f32_e32 v[10:11], v10
	v_cvt_f64_f32_e32 v[20:21], v20
	v_cvt_f32_f64_e32 v0, v[0:1]
	v_cvt_f32_f64_e32 v1, v[6:7]
	v_mul_f64 v[6:7], v[10:11], s[2:3]
	v_mul_f64 v[10:11], v[20:21], s[2:3]
	ds_read2_b64 v[44:47], v44 offset0:98 offset1:153
	v_add_co_u32_e64 v16, s[0:1], s4, v16
	v_addc_co_u32_e64 v17, s[0:1], v17, v48, s[0:1]
	global_store_dwordx2 v[16:17], v[0:1], off
	v_cvt_f32_f64_e32 v0, v[6:7]
	v_cvt_f32_f64_e32 v1, v[10:11]
	s_waitcnt lgkmcnt(0)
	v_mul_f32_e32 v6, v215, v45
	v_mul_f32_e32 v10, v215, v44
	v_fmac_f32_e32 v6, v214, v44
	v_fma_f32 v10, v214, v45, -v10
	v_cvt_f64_f32_e32 v[6:7], v6
	v_cvt_f64_f32_e32 v[10:11], v10
	v_mul_f32_e32 v20, v199, v5
	v_fmac_f32_e32 v20, v198, v4
	v_mul_f32_e32 v4, v199, v4
	v_fma_f32 v4, v198, v5, -v4
	v_mul_f64 v[6:7], v[6:7], s[2:3]
	v_mul_f64 v[10:11], v[10:11], s[2:3]
	v_cvt_f64_f32_e32 v[4:5], v4
	v_cvt_f64_f32_e32 v[20:21], v20
	v_add_co_u32_e64 v16, s[0:1], s4, v16
	v_mul_f64 v[4:5], v[4:5], s[2:3]
	v_addc_co_u32_e64 v17, s[0:1], v17, v48, s[0:1]
	global_store_dwordx2 v[16:17], v[0:1], off
	v_cvt_f32_f64_e32 v0, v[6:7]
	v_mul_f64 v[6:7], v[20:21], s[2:3]
	v_cvt_f32_f64_e32 v1, v[10:11]
	v_add_co_u32_e64 v10, s[0:1], s4, v16
	v_addc_co_u32_e64 v11, s[0:1], v17, v48, s[0:1]
	global_store_dwordx2 v[10:11], v[0:1], off
	v_cvt_f32_f64_e32 v1, v[4:5]
	v_mul_f32_e32 v4, v187, v9
	v_fmac_f32_e32 v4, v186, v8
	v_cvt_f64_f32_e32 v[4:5], v4
	v_cvt_f32_f64_e32 v0, v[6:7]
	s_mul_hi_u32 s1, s8, 0xfffffb55
	v_mul_f32_e32 v6, v187, v8
	s_mul_i32 s0, s9, 0xfffffb55
	s_sub_i32 s1, s1, s8
	v_fma_f32 v6, v186, v9, -v6
	s_add_i32 s1, s1, s0
	s_mul_i32 s0, s8, 0xfffffb55
	v_cvt_f64_f32_e32 v[6:7], v6
	v_mul_f64 v[4:5], v[4:5], s[2:3]
	s_lshl_b64 s[10:11], s[0:1], 3
	v_add_co_u32_e64 v8, s[0:1], s10, v10
	v_mul_f32_e32 v10, v193, v13
	v_mov_b32_e32 v16, s11
	v_fmac_f32_e32 v10, v192, v12
	v_addc_co_u32_e64 v9, s[0:1], v11, v16, s[0:1]
	v_mul_f64 v[6:7], v[6:7], s[2:3]
	v_cvt_f64_f32_e32 v[10:11], v10
	global_store_dwordx2 v[8:9], v[0:1], off
	v_cvt_f32_f64_e32 v0, v[4:5]
	v_mul_f32_e32 v12, v193, v12
	v_mul_f64 v[4:5], v[10:11], s[2:3]
	v_fma_f32 v12, v192, v13, -v12
	v_cvt_f64_f32_e32 v[12:13], v12
	v_cvt_f32_f64_e32 v1, v[6:7]
	v_add_co_u32_e64 v6, s[0:1], s4, v8
	v_addc_co_u32_e64 v7, s[0:1], v9, v48, s[0:1]
	v_mul_f64 v[10:11], v[12:13], s[2:3]
	global_store_dwordx2 v[6:7], v[0:1], off
	v_cvt_f32_f64_e32 v0, v[4:5]
	v_mul_f32_e32 v4, v183, v19
	v_fmac_f32_e32 v4, v182, v18
	v_cvt_f64_f32_e32 v[4:5], v4
	v_mul_f32_e32 v8, v183, v18
	v_fma_f32 v8, v182, v19, -v8
	v_cvt_f64_f32_e32 v[8:9], v8
	v_mul_f64 v[4:5], v[4:5], s[2:3]
	v_cvt_f32_f64_e32 v1, v[10:11]
	v_mul_f32_e32 v10, v185, v23
	v_fmac_f32_e32 v10, v184, v22
	v_mul_f64 v[8:9], v[8:9], s[2:3]
	v_cvt_f64_f32_e32 v[10:11], v10
	v_add_co_u32_e64 v6, s[0:1], s4, v6
	v_addc_co_u32_e64 v7, s[0:1], v7, v48, s[0:1]
	global_store_dwordx2 v[6:7], v[0:1], off
	v_cvt_f32_f64_e32 v0, v[4:5]
	v_mul_f64 v[4:5], v[10:11], s[2:3]
	v_mul_f32_e32 v12, v185, v22
	v_fma_f32 v12, v184, v23, -v12
	v_cvt_f64_f32_e32 v[12:13], v12
	v_cvt_f32_f64_e32 v1, v[8:9]
	v_add_co_u32_e64 v6, s[0:1], s4, v6
	v_addc_co_u32_e64 v7, s[0:1], v7, v48, s[0:1]
	v_mul_f64 v[10:11], v[12:13], s[2:3]
	global_store_dwordx2 v[6:7], v[0:1], off
	v_cvt_f32_f64_e32 v0, v[4:5]
	v_mul_f32_e32 v4, v181, v27
	v_fmac_f32_e32 v4, v180, v26
	v_cvt_f64_f32_e32 v[4:5], v4
	v_mul_f32_e32 v8, v181, v26
	v_fma_f32 v8, v180, v27, -v8
	v_cvt_f64_f32_e32 v[8:9], v8
	v_mul_f64 v[4:5], v[4:5], s[2:3]
	v_cvt_f32_f64_e32 v1, v[10:11]
	v_mul_f32_e32 v10, v201, v31
	v_fmac_f32_e32 v10, v200, v30
	v_mul_f64 v[8:9], v[8:9], s[2:3]
	v_cvt_f64_f32_e32 v[10:11], v10
	v_add_co_u32_e64 v6, s[0:1], s4, v6
	v_addc_co_u32_e64 v7, s[0:1], v7, v48, s[0:1]
	global_store_dwordx2 v[6:7], v[0:1], off
	v_cvt_f32_f64_e32 v0, v[4:5]
	v_mul_f64 v[4:5], v[10:11], s[2:3]
	v_mul_f32_e32 v12, v201, v30
	;; [unrolled: 26-line block ×3, first 2 shown]
	v_fma_f32 v12, v196, v39, -v12
	v_cvt_f64_f32_e32 v[12:13], v12
	v_cvt_f32_f64_e32 v1, v[8:9]
	v_add_co_u32_e64 v6, s[0:1], s4, v6
	v_addc_co_u32_e64 v7, s[0:1], v7, v48, s[0:1]
	v_mul_f64 v[10:11], v[12:13], s[2:3]
	global_store_dwordx2 v[6:7], v[0:1], off
	v_cvt_f32_f64_e32 v0, v[4:5]
	v_mul_f32_e32 v4, v191, v43
	v_fmac_f32_e32 v4, v190, v42
	v_cvt_f64_f32_e32 v[4:5], v4
	v_mul_f32_e32 v8, v191, v42
	v_fma_f32 v8, v190, v43, -v8
	v_cvt_f32_f64_e32 v1, v[10:11]
	v_mul_f64 v[4:5], v[4:5], s[2:3]
	v_cvt_f64_f32_e32 v[8:9], v8
	v_mul_f32_e32 v10, v189, v47
	v_mul_f32_e32 v12, v189, v46
	v_fmac_f32_e32 v10, v188, v46
	v_fma_f32 v12, v188, v47, -v12
	v_cvt_f64_f32_e32 v[10:11], v10
	v_cvt_f64_f32_e32 v[12:13], v12
	v_add_co_u32_e64 v6, s[0:1], s4, v6
	v_mul_f64 v[8:9], v[8:9], s[2:3]
	v_addc_co_u32_e64 v7, s[0:1], v7, v48, s[0:1]
	global_store_dwordx2 v[6:7], v[0:1], off
	v_cvt_f32_f64_e32 v0, v[4:5]
	v_mul_f64 v[4:5], v[10:11], s[2:3]
	v_mul_f64 v[10:11], v[12:13], s[2:3]
	v_add_co_u32_e64 v6, s[0:1], s4, v6
	v_cvt_f32_f64_e32 v1, v[8:9]
	v_addc_co_u32_e64 v7, s[0:1], v7, v48, s[0:1]
	v_cvt_f32_f64_e32 v4, v[4:5]
	v_cvt_f32_f64_e32 v5, v[10:11]
	global_store_dwordx2 v[6:7], v[0:1], off
	v_add_co_u32_e64 v0, s[0:1], s4, v6
	v_addc_co_u32_e64 v1, s[0:1], v7, v48, s[0:1]
	global_store_dwordx2 v[0:1], v[4:5], off
	s_and_b64 exec, exec, vcc
	s_cbranch_execz .LBB0_15
; %bb.14:
	global_load_dwordx2 v[8:9], v[178:179], off offset:880
	ds_read2_b64 v[4:7], v228 offset0:110 offset1:235
	v_add_co_u32_e32 v0, vcc, s10, v0
	v_mov_b32_e32 v12, s5
	s_waitcnt vmcnt(0) lgkmcnt(0)
	v_mul_f32_e32 v10, v5, v9
	v_mul_f32_e32 v9, v4, v9
	v_fmac_f32_e32 v10, v4, v8
	v_fma_f32 v8, v8, v5, -v9
	v_cvt_f64_f32_e32 v[4:5], v10
	v_cvt_f64_f32_e32 v[8:9], v8
	v_mov_b32_e32 v10, s11
	v_addc_co_u32_e32 v1, vcc, v1, v10, vcc
	v_mul_f64 v[4:5], v[4:5], s[2:3]
	v_mul_f64 v[8:9], v[8:9], s[2:3]
	v_cvt_f32_f64_e32 v4, v[4:5]
	v_cvt_f32_f64_e32 v5, v[8:9]
	global_store_dwordx2 v[0:1], v[4:5], off
	global_load_dwordx2 v[4:5], v[178:179], off offset:1880
	v_add_co_u32_e32 v0, vcc, s4, v0
	v_addc_co_u32_e32 v1, vcc, v1, v12, vcc
	s_waitcnt vmcnt(0)
	v_mul_f32_e32 v8, v7, v5
	v_mul_f32_e32 v5, v6, v5
	v_fmac_f32_e32 v8, v6, v4
	v_fma_f32 v6, v4, v7, -v5
	v_cvt_f64_f32_e32 v[4:5], v8
	v_cvt_f64_f32_e32 v[6:7], v6
	v_mul_f64 v[4:5], v[4:5], s[2:3]
	v_mul_f64 v[6:7], v[6:7], s[2:3]
	v_cvt_f32_f64_e32 v4, v[4:5]
	v_cvt_f32_f64_e32 v5, v[6:7]
	global_store_dwordx2 v[0:1], v[4:5], off
	global_load_dwordx2 v[8:9], v[178:179], off offset:2880
	ds_read2_b64 v[4:7], v129 offset0:104 offset1:229
	v_add_co_u32_e32 v0, vcc, s4, v0
	v_addc_co_u32_e32 v1, vcc, v1, v12, vcc
	s_waitcnt vmcnt(0) lgkmcnt(0)
	v_mul_f32_e32 v10, v5, v9
	v_mul_f32_e32 v9, v4, v9
	v_fmac_f32_e32 v10, v4, v8
	v_fma_f32 v8, v8, v5, -v9
	v_cvt_f64_f32_e32 v[4:5], v10
	v_cvt_f64_f32_e32 v[8:9], v8
	v_mul_f64 v[4:5], v[4:5], s[2:3]
	v_mul_f64 v[8:9], v[8:9], s[2:3]
	v_cvt_f32_f64_e32 v4, v[4:5]
	v_cvt_f32_f64_e32 v5, v[8:9]
	global_store_dwordx2 v[0:1], v[4:5], off
	global_load_dwordx2 v[4:5], v[178:179], off offset:3880
	s_waitcnt vmcnt(0)
	v_mul_f32_e32 v8, v7, v5
	v_mul_f32_e32 v5, v6, v5
	v_fmac_f32_e32 v8, v6, v4
	v_fma_f32 v6, v4, v7, -v5
	v_cvt_f64_f32_e32 v[4:5], v8
	v_cvt_f64_f32_e32 v[6:7], v6
	v_add_co_u32_e32 v8, vcc, s13, v178
	v_mul_f64 v[4:5], v[4:5], s[2:3]
	v_mul_f64 v[6:7], v[6:7], s[2:3]
	v_addc_co_u32_e32 v9, vcc, 0, v179, vcc
	v_add_co_u32_e32 v0, vcc, s4, v0
	v_addc_co_u32_e32 v1, vcc, v1, v12, vcc
	v_cvt_f32_f64_e32 v4, v[4:5]
	v_cvt_f32_f64_e32 v5, v[6:7]
	global_store_dwordx2 v[0:1], v[4:5], off
	global_load_dwordx2 v[10:11], v[8:9], off offset:784
	ds_read2_b64 v[4:7], v128 offset0:98 offset1:223
	v_add_co_u32_e32 v0, vcc, s4, v0
	v_addc_co_u32_e32 v1, vcc, v1, v12, vcc
	s_waitcnt vmcnt(0) lgkmcnt(0)
	v_mul_f32_e32 v13, v5, v11
	v_mul_f32_e32 v11, v4, v11
	v_fmac_f32_e32 v13, v4, v10
	v_fma_f32 v10, v10, v5, -v11
	v_cvt_f64_f32_e32 v[4:5], v13
	v_cvt_f64_f32_e32 v[10:11], v10
	v_mul_f64 v[4:5], v[4:5], s[2:3]
	v_mul_f64 v[10:11], v[10:11], s[2:3]
	v_cvt_f32_f64_e32 v4, v[4:5]
	v_cvt_f32_f64_e32 v5, v[10:11]
	global_store_dwordx2 v[0:1], v[4:5], off
	global_load_dwordx2 v[4:5], v[8:9], off offset:1784
	v_add_co_u32_e32 v0, vcc, s4, v0
	v_addc_co_u32_e32 v1, vcc, v1, v12, vcc
	s_waitcnt vmcnt(0)
	v_mul_f32_e32 v10, v7, v5
	v_mul_f32_e32 v5, v6, v5
	v_fmac_f32_e32 v10, v6, v4
	v_fma_f32 v6, v4, v7, -v5
	v_cvt_f64_f32_e32 v[4:5], v10
	v_cvt_f64_f32_e32 v[6:7], v6
	v_mul_f64 v[4:5], v[4:5], s[2:3]
	v_mul_f64 v[6:7], v[6:7], s[2:3]
	v_cvt_f32_f64_e32 v4, v[4:5]
	v_cvt_f32_f64_e32 v5, v[6:7]
	global_store_dwordx2 v[0:1], v[4:5], off
	global_load_dwordx2 v[10:11], v[8:9], off offset:2784
	ds_read2_b64 v[4:7], v15 offset0:92 offset1:217
	v_add_co_u32_e32 v0, vcc, s4, v0
	v_addc_co_u32_e32 v1, vcc, v1, v12, vcc
	s_waitcnt vmcnt(0) lgkmcnt(0)
	v_mul_f32_e32 v13, v5, v11
	v_mul_f32_e32 v11, v4, v11
	v_fmac_f32_e32 v13, v4, v10
	v_fma_f32 v10, v10, v5, -v11
	v_cvt_f64_f32_e32 v[4:5], v13
	v_cvt_f64_f32_e32 v[10:11], v10
	v_mul_f64 v[4:5], v[4:5], s[2:3]
	v_mul_f64 v[10:11], v[10:11], s[2:3]
	v_cvt_f32_f64_e32 v4, v[4:5]
	v_cvt_f32_f64_e32 v5, v[10:11]
	global_store_dwordx2 v[0:1], v[4:5], off
	global_load_dwordx2 v[4:5], v[8:9], off offset:3784
	s_waitcnt vmcnt(0)
	v_mul_f32_e32 v8, v7, v5
	v_mul_f32_e32 v5, v6, v5
	v_fmac_f32_e32 v8, v6, v4
	v_fma_f32 v6, v4, v7, -v5
	v_cvt_f64_f32_e32 v[4:5], v8
	v_cvt_f64_f32_e32 v[6:7], v6
	v_add_co_u32_e32 v8, vcc, s12, v178
	v_mul_f64 v[4:5], v[4:5], s[2:3]
	v_mul_f64 v[6:7], v[6:7], s[2:3]
	v_addc_co_u32_e32 v9, vcc, 0, v179, vcc
	v_add_co_u32_e32 v0, vcc, s4, v0
	v_addc_co_u32_e32 v1, vcc, v1, v12, vcc
	v_cvt_f32_f64_e32 v4, v[4:5]
	v_cvt_f32_f64_e32 v5, v[6:7]
	global_store_dwordx2 v[0:1], v[4:5], off
	global_load_dwordx2 v[10:11], v[8:9], off offset:688
	ds_read2_b64 v[4:7], v14 offset0:86 offset1:211
	v_add_co_u32_e32 v0, vcc, s4, v0
	v_addc_co_u32_e32 v1, vcc, v1, v12, vcc
	s_waitcnt vmcnt(0) lgkmcnt(0)
	v_mul_f32_e32 v13, v5, v11
	v_mul_f32_e32 v11, v4, v11
	v_fmac_f32_e32 v13, v4, v10
	v_fma_f32 v10, v10, v5, -v11
	v_cvt_f64_f32_e32 v[4:5], v13
	v_cvt_f64_f32_e32 v[10:11], v10
	v_mul_f64 v[4:5], v[4:5], s[2:3]
	v_mul_f64 v[10:11], v[10:11], s[2:3]
	v_cvt_f32_f64_e32 v4, v[4:5]
	v_cvt_f32_f64_e32 v5, v[10:11]
	global_store_dwordx2 v[0:1], v[4:5], off
	global_load_dwordx2 v[4:5], v[8:9], off offset:1688
	v_add_co_u32_e32 v0, vcc, s4, v0
	v_addc_co_u32_e32 v1, vcc, v1, v12, vcc
	s_waitcnt vmcnt(0)
	v_mul_f32_e32 v8, v7, v5
	v_mul_f32_e32 v5, v6, v5
	v_fmac_f32_e32 v8, v6, v4
	v_fma_f32 v6, v4, v7, -v5
	v_cvt_f64_f32_e32 v[4:5], v8
	v_cvt_f64_f32_e32 v[6:7], v6
	v_or_b32_e32 v8, 0x550, v227
	v_lshlrev_b32_e32 v9, 3, v8
	v_mul_f64 v[4:5], v[4:5], s[2:3]
	v_mul_f64 v[6:7], v[6:7], s[2:3]
	v_cvt_f32_f64_e32 v4, v[4:5]
	v_cvt_f32_f64_e32 v5, v[6:7]
	v_mad_u64_u32 v[6:7], s[0:1], s8, v8, 0
	global_store_dwordx2 v[0:1], v[4:5], off
	global_load_dwordx2 v[0:1], v9, s[6:7]
	ds_read_b64 v[4:5], v228 offset:10880
	v_mad_u64_u32 v[7:8], s[0:1], s9, v8, v[7:8]
	v_lshlrev_b64 v[6:7], 3, v[6:7]
	v_add_co_u32_e32 v2, vcc, v2, v6
	v_addc_co_u32_e32 v3, vcc, v3, v7, vcc
	s_waitcnt vmcnt(0) lgkmcnt(0)
	v_mul_f32_e32 v9, v5, v1
	v_mul_f32_e32 v1, v4, v1
	v_fmac_f32_e32 v9, v4, v0
	v_fma_f32 v4, v0, v5, -v1
	v_cvt_f64_f32_e32 v[0:1], v9
	v_cvt_f64_f32_e32 v[4:5], v4
	v_mul_f64 v[0:1], v[0:1], s[2:3]
	v_mul_f64 v[4:5], v[4:5], s[2:3]
	v_cvt_f32_f64_e32 v0, v[0:1]
	v_cvt_f32_f64_e32 v1, v[4:5]
	global_store_dwordx2 v[2:3], v[0:1], off
.LBB0_15:
	s_endpgm
	.section	.rodata,"a",@progbits
	.p2align	6, 0x0
	.amdhsa_kernel bluestein_single_back_len1375_dim1_sp_op_CI_CI
		.amdhsa_group_segment_fixed_size 11000
		.amdhsa_private_segment_fixed_size 40
		.amdhsa_kernarg_size 104
		.amdhsa_user_sgpr_count 6
		.amdhsa_user_sgpr_private_segment_buffer 1
		.amdhsa_user_sgpr_dispatch_ptr 0
		.amdhsa_user_sgpr_queue_ptr 0
		.amdhsa_user_sgpr_kernarg_segment_ptr 1
		.amdhsa_user_sgpr_dispatch_id 0
		.amdhsa_user_sgpr_flat_scratch_init 0
		.amdhsa_user_sgpr_private_segment_size 0
		.amdhsa_uses_dynamic_stack 0
		.amdhsa_system_sgpr_private_segment_wavefront_offset 1
		.amdhsa_system_sgpr_workgroup_id_x 1
		.amdhsa_system_sgpr_workgroup_id_y 0
		.amdhsa_system_sgpr_workgroup_id_z 0
		.amdhsa_system_sgpr_workgroup_info 0
		.amdhsa_system_vgpr_workitem_id 0
		.amdhsa_next_free_vgpr 256
		.amdhsa_next_free_sgpr 24
		.amdhsa_reserve_vcc 1
		.amdhsa_reserve_flat_scratch 0
		.amdhsa_float_round_mode_32 0
		.amdhsa_float_round_mode_16_64 0
		.amdhsa_float_denorm_mode_32 3
		.amdhsa_float_denorm_mode_16_64 3
		.amdhsa_dx10_clamp 1
		.amdhsa_ieee_mode 1
		.amdhsa_fp16_overflow 0
		.amdhsa_exception_fp_ieee_invalid_op 0
		.amdhsa_exception_fp_denorm_src 0
		.amdhsa_exception_fp_ieee_div_zero 0
		.amdhsa_exception_fp_ieee_overflow 0
		.amdhsa_exception_fp_ieee_underflow 0
		.amdhsa_exception_fp_ieee_inexact 0
		.amdhsa_exception_int_div_zero 0
	.end_amdhsa_kernel
	.text
.Lfunc_end0:
	.size	bluestein_single_back_len1375_dim1_sp_op_CI_CI, .Lfunc_end0-bluestein_single_back_len1375_dim1_sp_op_CI_CI
                                        ; -- End function
	.section	.AMDGPU.csdata,"",@progbits
; Kernel info:
; codeLenInByte = 34976
; NumSgprs: 28
; NumVgprs: 256
; ScratchSize: 40
; MemoryBound: 0
; FloatMode: 240
; IeeeMode: 1
; LDSByteSize: 11000 bytes/workgroup (compile time only)
; SGPRBlocks: 3
; VGPRBlocks: 63
; NumSGPRsForWavesPerEU: 28
; NumVGPRsForWavesPerEU: 256
; Occupancy: 1
; WaveLimiterHint : 1
; COMPUTE_PGM_RSRC2:SCRATCH_EN: 1
; COMPUTE_PGM_RSRC2:USER_SGPR: 6
; COMPUTE_PGM_RSRC2:TRAP_HANDLER: 0
; COMPUTE_PGM_RSRC2:TGID_X_EN: 1
; COMPUTE_PGM_RSRC2:TGID_Y_EN: 0
; COMPUTE_PGM_RSRC2:TGID_Z_EN: 0
; COMPUTE_PGM_RSRC2:TIDIG_COMP_CNT: 0
	.type	__hip_cuid_2c922a6750baf10b,@object ; @__hip_cuid_2c922a6750baf10b
	.section	.bss,"aw",@nobits
	.globl	__hip_cuid_2c922a6750baf10b
__hip_cuid_2c922a6750baf10b:
	.byte	0                               ; 0x0
	.size	__hip_cuid_2c922a6750baf10b, 1

	.ident	"AMD clang version 19.0.0git (https://github.com/RadeonOpenCompute/llvm-project roc-6.4.0 25133 c7fe45cf4b819c5991fe208aaa96edf142730f1d)"
	.section	".note.GNU-stack","",@progbits
	.addrsig
	.addrsig_sym __hip_cuid_2c922a6750baf10b
	.amdgpu_metadata
---
amdhsa.kernels:
  - .args:
      - .actual_access:  read_only
        .address_space:  global
        .offset:         0
        .size:           8
        .value_kind:     global_buffer
      - .actual_access:  read_only
        .address_space:  global
        .offset:         8
        .size:           8
        .value_kind:     global_buffer
      - .actual_access:  read_only
        .address_space:  global
        .offset:         16
        .size:           8
        .value_kind:     global_buffer
      - .actual_access:  read_only
        .address_space:  global
        .offset:         24
        .size:           8
        .value_kind:     global_buffer
      - .actual_access:  read_only
        .address_space:  global
        .offset:         32
        .size:           8
        .value_kind:     global_buffer
      - .offset:         40
        .size:           8
        .value_kind:     by_value
      - .address_space:  global
        .offset:         48
        .size:           8
        .value_kind:     global_buffer
      - .address_space:  global
        .offset:         56
        .size:           8
        .value_kind:     global_buffer
      - .address_space:  global
        .offset:         64
        .size:           8
        .value_kind:     global_buffer
      - .address_space:  global
        .offset:         72
        .size:           8
        .value_kind:     global_buffer
      - .offset:         80
        .size:           4
        .value_kind:     by_value
      - .address_space:  global
        .offset:         88
        .size:           8
        .value_kind:     global_buffer
      - .address_space:  global
        .offset:         96
        .size:           8
        .value_kind:     global_buffer
    .group_segment_fixed_size: 11000
    .kernarg_segment_align: 8
    .kernarg_segment_size: 104
    .language:       OpenCL C
    .language_version:
      - 2
      - 0
    .max_flat_workgroup_size: 55
    .name:           bluestein_single_back_len1375_dim1_sp_op_CI_CI
    .private_segment_fixed_size: 40
    .sgpr_count:     28
    .sgpr_spill_count: 0
    .symbol:         bluestein_single_back_len1375_dim1_sp_op_CI_CI.kd
    .uniform_work_group_size: 1
    .uses_dynamic_stack: false
    .vgpr_count:     256
    .vgpr_spill_count: 9
    .wavefront_size: 64
amdhsa.target:   amdgcn-amd-amdhsa--gfx906
amdhsa.version:
  - 1
  - 2
...

	.end_amdgpu_metadata
